;; amdgpu-corpus repo=ROCm/hipCUB kind=compiled arch=gfx942 opt=O3
	.text
	.amdgcn_target "amdgcn-amd-amdhsa--gfx942"
	.amdhsa_code_object_version 6
	.section	.text._Z6kernelI9histogramILN6hipcub23BlockHistogramAlgorithmE0EEiLj256ELj1ELj256ELj100EEvPKT0_PS4_,"axG",@progbits,_Z6kernelI9histogramILN6hipcub23BlockHistogramAlgorithmE0EEiLj256ELj1ELj256ELj100EEvPKT0_PS4_,comdat
	.protected	_Z6kernelI9histogramILN6hipcub23BlockHistogramAlgorithmE0EEiLj256ELj1ELj256ELj100EEvPKT0_PS4_ ; -- Begin function _Z6kernelI9histogramILN6hipcub23BlockHistogramAlgorithmE0EEiLj256ELj1ELj256ELj100EEvPKT0_PS4_
	.globl	_Z6kernelI9histogramILN6hipcub23BlockHistogramAlgorithmE0EEiLj256ELj1ELj256ELj100EEvPKT0_PS4_
	.p2align	8
	.type	_Z6kernelI9histogramILN6hipcub23BlockHistogramAlgorithmE0EEiLj256ELj1ELj256ELj100EEvPKT0_PS4_,@function
_Z6kernelI9histogramILN6hipcub23BlockHistogramAlgorithmE0EEiLj256ELj1ELj256ELj100EEvPKT0_PS4_: ; @_Z6kernelI9histogramILN6hipcub23BlockHistogramAlgorithmE0EEiLj256ELj1ELj256ELj100EEvPKT0_PS4_
; %bb.0:
	s_load_dwordx4 s[4:7], s[0:1], 0x0
	s_lshl_b32 s0, s2, 8
	v_or_b32_e32 v2, s0, v0
	v_mov_b32_e32 v3, 0
	s_movk_i32 s0, 0x100
	s_waitcnt lgkmcnt(0)
	v_mov_b32_e32 v4, s4
	v_mov_b32_e32 v5, s5
	v_lshl_add_u64 v[4:5], v[2:3], 2, v[4:5]
	global_load_dword v1, v[4:5], off
	v_cmp_gt_u32_e32 vcc, s0, v0
	v_mov_b32_e32 v6, v3
	v_mov_b32_e32 v8, v3
	;; [unrolled: 1-line block ×8, first 2 shown]
	v_lshlrev_b32_e32 v20, 2, v0
	s_movk_i32 s4, 0x64
	s_waitcnt vmcnt(0)
	v_and_b32_e32 v4, 1, v1
	v_lshlrev_b32_e32 v7, 30, v1
	v_cmp_eq_u32_e64 s[0:1], 1, v4
	v_lshlrev_b32_e32 v9, 29, v1
	v_lshlrev_b32_e32 v11, 28, v1
	v_cndmask_b32_e64 v22, 0, 1, s[0:1]
	v_cmp_gt_i64_e64 s[0:1], 0, v[6:7]
	v_lshlrev_b32_e32 v13, 27, v1
	v_lshlrev_b32_e32 v15, 26, v1
	v_cndmask_b32_e64 v23, 0, 1, s[0:1]
	v_cmp_gt_i64_e64 s[0:1], 0, v[8:9]
	;; [unrolled: 4-line block ×3, first 2 shown]
	v_lshlrev_b32_e32 v21, 2, v1
	v_lshl_add_u64 v[0:1], v[4:5], 0, -1
	v_cndmask_b32_e64 v25, 0, 1, s[0:1]
	v_cmp_gt_i64_e64 s[0:1], 0, v[12:13]
	v_not_b32_e32 v5, v7
	v_not_b32_e32 v29, v9
	v_cndmask_b32_e64 v26, 0, 1, s[0:1]
	v_cmp_gt_i64_e64 s[0:1], 0, v[14:15]
	v_not_b32_e32 v30, v11
	v_not_b32_e32 v31, v13
	;; [unrolled: 1-line block ×5, first 2 shown]
	v_cndmask_b32_e64 v27, 0, 1, s[0:1]
	v_cmp_gt_i64_e64 s[0:1], 0, v[16:17]
	v_ashrrev_i32_e32 v4, 31, v5
	v_ashrrev_i32_e32 v6, 31, v29
	v_cndmask_b32_e64 v28, 0, 1, s[0:1]
	v_ashrrev_i32_e32 v8, 31, v30
	v_ashrrev_i32_e32 v10, 31, v31
	;; [unrolled: 1-line block ×5, first 2 shown]
	v_cmp_gt_i64_e64 s[0:1], 0, v[18:19]
	v_mov_b32_e32 v5, v4
	v_mov_b32_e32 v7, v6
	;; [unrolled: 1-line block ×7, first 2 shown]
	v_cndmask_b32_e64 v29, 0, 1, s[0:1]
	s_branch .LBB0_2
.LBB0_1:                                ;   in Loop: Header=BB0_2 Depth=1
	s_or_b64 exec, exec, s[2:3]
	s_add_i32 s4, s4, -1
	s_cmp_eq_u32 s4, 0
	s_waitcnt lgkmcnt(0)
	s_barrier
	s_cbranch_scc1 .LBB0_6
.LBB0_2:                                ; =>This Inner Loop Header: Depth=1
	s_and_saveexec_b64 s[0:1], vcc
	s_cbranch_execz .LBB0_4
; %bb.3:                                ;   in Loop: Header=BB0_2 Depth=1
	ds_write_b32 v20, v3
.LBB0_4:                                ;   in Loop: Header=BB0_2 Depth=1
	s_or_b64 exec, exec, s[0:1]
	v_cmp_ne_u32_e64 s[0:1], 0, v22
	s_waitcnt lgkmcnt(0)
	s_barrier
	v_xor_b32_e32 v18, s1, v1
	v_xor_b32_e32 v19, s0, v0
	v_cmp_ne_u32_e64 s[0:1], 0, v23
	v_and_b32_e32 v18, exec_hi, v18
	v_and_b32_e32 v19, exec_lo, v19
	v_xor_b32_e32 v30, s1, v5
	v_xor_b32_e32 v31, s0, v4
	v_cmp_ne_u32_e64 s[0:1], 0, v24
	v_and_b32_e32 v18, v18, v30
	v_and_b32_e32 v19, v19, v31
	v_xor_b32_e32 v30, s1, v7
	v_xor_b32_e32 v31, s0, v6
	v_cmp_ne_u32_e64 s[0:1], 0, v25
	v_and_b32_e32 v18, v18, v30
	v_and_b32_e32 v19, v19, v31
	;; [unrolled: 5-line block ×6, first 2 shown]
	v_xor_b32_e32 v19, s1, v17
	v_xor_b32_e32 v31, s0, v16
	v_and_b32_e32 v19, v18, v19
	v_and_b32_e32 v18, v30, v31
	v_mbcnt_lo_u32_b32 v30, v18, 0
	v_mbcnt_hi_u32_b32 v30, v19, v30
	v_cmp_eq_u32_e64 s[0:1], 0, v30
	s_and_saveexec_b64 s[2:3], s[0:1]
	s_cbranch_execz .LBB0_1
; %bb.5:                                ;   in Loop: Header=BB0_2 Depth=1
	v_bcnt_u32_b32 v18, v18, 0
	v_bcnt_u32_b32 v18, v19, v18
	ds_add_u32 v21, v18
	s_branch .LBB0_1
.LBB0_6:
	s_and_saveexec_b64 s[0:1], vcc
	s_cbranch_execz .LBB0_8
; %bb.7:
	ds_read_b32 v4, v20
	v_mov_b32_e32 v0, s6
	v_mov_b32_e32 v1, s7
	;; [unrolled: 1-line block ×3, first 2 shown]
	v_lshl_add_u64 v[0:1], v[2:3], 2, v[0:1]
	s_waitcnt lgkmcnt(0)
	global_store_dword v[0:1], v4, off
.LBB0_8:
	s_endpgm
	.section	.rodata,"a",@progbits
	.p2align	6, 0x0
	.amdhsa_kernel _Z6kernelI9histogramILN6hipcub23BlockHistogramAlgorithmE0EEiLj256ELj1ELj256ELj100EEvPKT0_PS4_
		.amdhsa_group_segment_fixed_size 1024
		.amdhsa_private_segment_fixed_size 0
		.amdhsa_kernarg_size 16
		.amdhsa_user_sgpr_count 2
		.amdhsa_user_sgpr_dispatch_ptr 0
		.amdhsa_user_sgpr_queue_ptr 0
		.amdhsa_user_sgpr_kernarg_segment_ptr 1
		.amdhsa_user_sgpr_dispatch_id 0
		.amdhsa_user_sgpr_kernarg_preload_length 0
		.amdhsa_user_sgpr_kernarg_preload_offset 0
		.amdhsa_user_sgpr_private_segment_size 0
		.amdhsa_uses_dynamic_stack 0
		.amdhsa_enable_private_segment 0
		.amdhsa_system_sgpr_workgroup_id_x 1
		.amdhsa_system_sgpr_workgroup_id_y 0
		.amdhsa_system_sgpr_workgroup_id_z 0
		.amdhsa_system_sgpr_workgroup_info 0
		.amdhsa_system_vgpr_workitem_id 0
		.amdhsa_next_free_vgpr 35
		.amdhsa_next_free_sgpr 8
		.amdhsa_accum_offset 36
		.amdhsa_reserve_vcc 1
		.amdhsa_float_round_mode_32 0
		.amdhsa_float_round_mode_16_64 0
		.amdhsa_float_denorm_mode_32 3
		.amdhsa_float_denorm_mode_16_64 3
		.amdhsa_dx10_clamp 1
		.amdhsa_ieee_mode 1
		.amdhsa_fp16_overflow 0
		.amdhsa_tg_split 0
		.amdhsa_exception_fp_ieee_invalid_op 0
		.amdhsa_exception_fp_denorm_src 0
		.amdhsa_exception_fp_ieee_div_zero 0
		.amdhsa_exception_fp_ieee_overflow 0
		.amdhsa_exception_fp_ieee_underflow 0
		.amdhsa_exception_fp_ieee_inexact 0
		.amdhsa_exception_int_div_zero 0
	.end_amdhsa_kernel
	.section	.text._Z6kernelI9histogramILN6hipcub23BlockHistogramAlgorithmE0EEiLj256ELj1ELj256ELj100EEvPKT0_PS4_,"axG",@progbits,_Z6kernelI9histogramILN6hipcub23BlockHistogramAlgorithmE0EEiLj256ELj1ELj256ELj100EEvPKT0_PS4_,comdat
.Lfunc_end0:
	.size	_Z6kernelI9histogramILN6hipcub23BlockHistogramAlgorithmE0EEiLj256ELj1ELj256ELj100EEvPKT0_PS4_, .Lfunc_end0-_Z6kernelI9histogramILN6hipcub23BlockHistogramAlgorithmE0EEiLj256ELj1ELj256ELj100EEvPKT0_PS4_
                                        ; -- End function
	.section	.AMDGPU.csdata,"",@progbits
; Kernel info:
; codeLenInByte = 716
; NumSgprs: 14
; NumVgprs: 35
; NumAgprs: 0
; TotalNumVgprs: 35
; ScratchSize: 0
; MemoryBound: 0
; FloatMode: 240
; IeeeMode: 1
; LDSByteSize: 1024 bytes/workgroup (compile time only)
; SGPRBlocks: 1
; VGPRBlocks: 4
; NumSGPRsForWavesPerEU: 14
; NumVGPRsForWavesPerEU: 35
; AccumOffset: 36
; Occupancy: 8
; WaveLimiterHint : 0
; COMPUTE_PGM_RSRC2:SCRATCH_EN: 0
; COMPUTE_PGM_RSRC2:USER_SGPR: 2
; COMPUTE_PGM_RSRC2:TRAP_HANDLER: 0
; COMPUTE_PGM_RSRC2:TGID_X_EN: 1
; COMPUTE_PGM_RSRC2:TGID_Y_EN: 0
; COMPUTE_PGM_RSRC2:TGID_Z_EN: 0
; COMPUTE_PGM_RSRC2:TIDIG_COMP_CNT: 0
; COMPUTE_PGM_RSRC3_GFX90A:ACCUM_OFFSET: 8
; COMPUTE_PGM_RSRC3_GFX90A:TG_SPLIT: 0
	.section	.text._Z6kernelI9histogramILN6hipcub23BlockHistogramAlgorithmE0EEiLj256ELj2ELj256ELj100EEvPKT0_PS4_,"axG",@progbits,_Z6kernelI9histogramILN6hipcub23BlockHistogramAlgorithmE0EEiLj256ELj2ELj256ELj100EEvPKT0_PS4_,comdat
	.protected	_Z6kernelI9histogramILN6hipcub23BlockHistogramAlgorithmE0EEiLj256ELj2ELj256ELj100EEvPKT0_PS4_ ; -- Begin function _Z6kernelI9histogramILN6hipcub23BlockHistogramAlgorithmE0EEiLj256ELj2ELj256ELj100EEvPKT0_PS4_
	.globl	_Z6kernelI9histogramILN6hipcub23BlockHistogramAlgorithmE0EEiLj256ELj2ELj256ELj100EEvPKT0_PS4_
	.p2align	8
	.type	_Z6kernelI9histogramILN6hipcub23BlockHistogramAlgorithmE0EEiLj256ELj2ELj256ELj100EEvPKT0_PS4_,@function
_Z6kernelI9histogramILN6hipcub23BlockHistogramAlgorithmE0EEiLj256ELj2ELj256ELj100EEvPKT0_PS4_: ; @_Z6kernelI9histogramILN6hipcub23BlockHistogramAlgorithmE0EEiLj256ELj2ELj256ELj100EEvPKT0_PS4_
; %bb.0:
	s_load_dwordx4 s[36:39], s[0:1], 0x0
	v_lshlrev_b32_e32 v1, 1, v0
	v_lshl_or_b32 v2, s2, 9, v1
	v_mov_b32_e32 v3, 0
	v_mov_b32_e32 v22, v3
	s_waitcnt lgkmcnt(0)
	v_mov_b32_e32 v4, s36
	v_mov_b32_e32 v5, s37
	v_lshl_add_u64 v[4:5], v[2:3], 2, v[4:5]
	global_load_dwordx2 v[34:35], v[4:5], off
	v_mov_b32_e32 v24, v3
	v_mov_b32_e32 v26, v3
	;; [unrolled: 1-line block ×3, first 2 shown]
	s_movk_i32 s0, 0x100
	v_mov_b32_e32 v6, v3
	v_mov_b32_e32 v8, v3
	;; [unrolled: 1-line block ×8, first 2 shown]
	v_cmp_gt_u32_e32 vcc, s0, v0
	v_mov_b32_e32 v20, v3
	v_mov_b32_e32 v32, v3
	v_lshlrev_b32_e32 v36, 2, v0
	s_movk_i32 s3, 0x64
	s_waitcnt vmcnt(0)
	v_lshlrev_b32_e32 v23, 29, v35
	v_lshlrev_b32_e32 v25, 28, v35
	;; [unrolled: 1-line block ×5, first 2 shown]
	v_and_b32_e32 v2, 1, v34
	v_lshlrev_b32_e32 v7, 30, v34
	v_lshlrev_b32_e32 v9, 29, v34
	v_lshlrev_b32_e32 v11, 28, v34
	v_lshlrev_b32_e32 v13, 27, v34
	v_lshlrev_b32_e32 v15, 26, v34
	v_lshlrev_b32_e32 v17, 25, v34
	v_lshlrev_b32_e32 v19, 24, v34
	v_lshlrev_b32_e32 v21, 30, v35
	v_cmp_gt_i64_e64 s[18:19], 0, v[22:23]
	v_not_b32_e32 v22, v23
	v_cmp_gt_i64_e64 s[20:21], 0, v[24:25]
	v_not_b32_e32 v23, v25
	;; [unrolled: 2-line block ×4, first 2 shown]
	v_not_b32_e32 v29, v31
	v_lshlrev_b32_e32 v33, 24, v35
	v_lshl_add_u64 v[4:5], v[2:3], 0, -1
	v_cmp_eq_u32_e64 s[0:1], 1, v2
	v_cmp_gt_i64_e64 s[34:35], 0, v[6:7]
	v_not_b32_e32 v1, v7
	v_cmp_gt_i64_e64 s[4:5], 0, v[8:9]
	v_not_b32_e32 v7, v9
	;; [unrolled: 2-line block ×7, first 2 shown]
	v_and_b32_e32 v2, 1, v35
	v_not_b32_e32 v19, v21
	v_cmp_gt_i64_e64 s[28:29], 0, v[30:31]
	v_ashrrev_i32_e32 v30, 31, v29
	v_not_b32_e32 v29, v33
	v_cmp_gt_i64_e64 s[16:17], 0, v[20:21]
	v_ashrrev_i32_e32 v6, 31, v1
	v_ashrrev_i32_e32 v8, 31, v7
	;; [unrolled: 1-line block ×7, first 2 shown]
	v_lshl_add_u64 v[20:21], v[2:3], 0, -1
	v_cmp_eq_u32_e64 s[26:27], 1, v2
	v_ashrrev_i32_e32 v2, 31, v19
	v_ashrrev_i32_e32 v22, 31, v22
	;; [unrolled: 1-line block ×5, first 2 shown]
	v_cmp_gt_i64_e64 s[30:31], 0, v[32:33]
	v_ashrrev_i32_e32 v32, 31, v29
	v_mov_b32_e32 v1, v6
	v_mov_b32_e32 v7, v8
	;; [unrolled: 1-line block ×11, first 2 shown]
	v_lshlrev_b32_e32 v37, 2, v34
	v_lshlrev_b32_e32 v38, 2, v35
	v_mov_b32_e32 v29, v28
	v_mov_b32_e32 v31, v30
	;; [unrolled: 1-line block ×3, first 2 shown]
	s_branch .LBB1_2
.LBB1_1:                                ;   in Loop: Header=BB1_2 Depth=1
	s_or_b64 exec, exec, s[40:41]
	s_add_i32 s3, s3, -1
	s_cmp_eq_u32 s3, 0
	s_waitcnt lgkmcnt(0)
	s_barrier
	s_cbranch_scc1 .LBB1_8
.LBB1_2:                                ; =>This Inner Loop Header: Depth=1
	s_and_saveexec_b64 s[36:37], vcc
	s_cbranch_execz .LBB1_4
; %bb.3:                                ;   in Loop: Header=BB1_2 Depth=1
	ds_write_b32 v36, v3
.LBB1_4:                                ;   in Loop: Header=BB1_2 Depth=1
	s_or_b64 exec, exec, s[36:37]
	v_cndmask_b32_e64 v34, 0, 1, s[0:1]
	v_cmp_ne_u32_e64 s[36:37], 0, v34
	v_cndmask_b32_e64 v39, 0, 1, s[34:35]
	s_waitcnt lgkmcnt(0)
	v_xor_b32_e32 v34, s37, v5
	v_xor_b32_e32 v35, s36, v4
	v_cmp_ne_u32_e64 s[36:37], 0, v39
	v_and_b32_e32 v34, exec_hi, v34
	v_and_b32_e32 v35, exec_lo, v35
	v_xor_b32_e32 v39, s37, v1
	v_and_b32_e32 v34, v34, v39
	v_cndmask_b32_e64 v39, 0, 1, s[4:5]
	v_xor_b32_e32 v40, s36, v6
	v_cmp_ne_u32_e64 s[36:37], 0, v39
	v_and_b32_e32 v35, v35, v40
	s_barrier
	v_xor_b32_e32 v39, s37, v7
	v_and_b32_e32 v34, v34, v39
	v_cndmask_b32_e64 v39, 0, 1, s[6:7]
	v_xor_b32_e32 v40, s36, v8
	v_cmp_ne_u32_e64 s[36:37], 0, v39
	v_and_b32_e32 v35, v35, v40
	s_nop 0
	v_xor_b32_e32 v39, s37, v9
	v_and_b32_e32 v34, v34, v39
	v_cndmask_b32_e64 v39, 0, 1, s[8:9]
	v_xor_b32_e32 v40, s36, v10
	v_cmp_ne_u32_e64 s[36:37], 0, v39
	v_and_b32_e32 v35, v35, v40
	s_nop 0
	;; [unrolled: 7-line block ×4, first 2 shown]
	v_xor_b32_e32 v39, s37, v15
	v_xor_b32_e32 v40, s36, v16
	v_and_b32_e32 v34, v34, v39
	v_and_b32_e32 v39, v35, v40
	v_cndmask_b32_e64 v35, 0, 1, s[14:15]
	v_cmp_ne_u32_e64 s[36:37], 0, v35
	s_nop 1
	v_xor_b32_e32 v35, s37, v17
	v_xor_b32_e32 v40, s36, v18
	v_and_b32_e32 v35, v34, v35
	v_and_b32_e32 v34, v39, v40
	v_mbcnt_lo_u32_b32 v39, v34, 0
	v_mbcnt_hi_u32_b32 v39, v35, v39
	v_cmp_eq_u32_e64 s[36:37], 0, v39
	s_and_saveexec_b64 s[40:41], s[36:37]
	s_cbranch_execz .LBB1_6
; %bb.5:                                ;   in Loop: Header=BB1_2 Depth=1
	v_bcnt_u32_b32 v34, v34, 0
	v_bcnt_u32_b32 v34, v35, v34
	ds_add_u32 v37, v34
.LBB1_6:                                ;   in Loop: Header=BB1_2 Depth=1
	s_or_b64 exec, exec, s[40:41]
	v_cndmask_b32_e64 v34, 0, 1, s[26:27]
	v_cmp_ne_u32_e64 s[36:37], 0, v34
	v_cndmask_b32_e64 v39, 0, 1, s[16:17]
	s_nop 0
	v_xor_b32_e32 v34, s37, v21
	v_xor_b32_e32 v35, s36, v20
	v_cmp_ne_u32_e64 s[36:37], 0, v39
	v_and_b32_e32 v34, exec_hi, v34
	v_and_b32_e32 v35, exec_lo, v35
	v_xor_b32_e32 v39, s37, v19
	v_and_b32_e32 v34, v34, v39
	v_cndmask_b32_e64 v39, 0, 1, s[18:19]
	v_xor_b32_e32 v40, s36, v2
	v_cmp_ne_u32_e64 s[36:37], 0, v39
	v_and_b32_e32 v35, v35, v40
	s_nop 0
	v_xor_b32_e32 v39, s37, v23
	v_and_b32_e32 v34, v34, v39
	v_cndmask_b32_e64 v39, 0, 1, s[20:21]
	v_xor_b32_e32 v40, s36, v22
	v_cmp_ne_u32_e64 s[36:37], 0, v39
	v_and_b32_e32 v35, v35, v40
	s_nop 0
	;; [unrolled: 7-line block ×5, first 2 shown]
	v_xor_b32_e32 v39, s37, v31
	v_xor_b32_e32 v40, s36, v30
	v_and_b32_e32 v34, v34, v39
	v_and_b32_e32 v39, v35, v40
	v_cndmask_b32_e64 v35, 0, 1, s[30:31]
	v_cmp_ne_u32_e64 s[36:37], 0, v35
	s_nop 1
	v_xor_b32_e32 v35, s37, v33
	v_xor_b32_e32 v40, s36, v32
	v_and_b32_e32 v35, v34, v35
	v_and_b32_e32 v34, v39, v40
	v_mbcnt_lo_u32_b32 v39, v34, 0
	v_mbcnt_hi_u32_b32 v39, v35, v39
	v_cmp_eq_u32_e64 s[36:37], 0, v39
	s_and_saveexec_b64 s[40:41], s[36:37]
	s_cbranch_execz .LBB1_1
; %bb.7:                                ;   in Loop: Header=BB1_2 Depth=1
	v_bcnt_u32_b32 v34, v34, 0
	v_bcnt_u32_b32 v34, v35, v34
	ds_add_u32 v38, v34
	s_branch .LBB1_1
.LBB1_8:
	s_and_saveexec_b64 s[0:1], vcc
	s_cbranch_execz .LBB1_10
; %bb.9:
	ds_read_b32 v4, v36
	v_mov_b32_e32 v2, s38
	v_mov_b32_e32 v3, s39
	v_lshl_or_b32 v0, s2, 8, v0
	v_mov_b32_e32 v1, 0
	v_lshl_add_u64 v[0:1], v[0:1], 2, v[2:3]
	s_waitcnt lgkmcnt(0)
	global_store_dword v[0:1], v4, off
.LBB1_10:
	s_endpgm
	.section	.rodata,"a",@progbits
	.p2align	6, 0x0
	.amdhsa_kernel _Z6kernelI9histogramILN6hipcub23BlockHistogramAlgorithmE0EEiLj256ELj2ELj256ELj100EEvPKT0_PS4_
		.amdhsa_group_segment_fixed_size 1024
		.amdhsa_private_segment_fixed_size 0
		.amdhsa_kernarg_size 16
		.amdhsa_user_sgpr_count 2
		.amdhsa_user_sgpr_dispatch_ptr 0
		.amdhsa_user_sgpr_queue_ptr 0
		.amdhsa_user_sgpr_kernarg_segment_ptr 1
		.amdhsa_user_sgpr_dispatch_id 0
		.amdhsa_user_sgpr_kernarg_preload_length 0
		.amdhsa_user_sgpr_kernarg_preload_offset 0
		.amdhsa_user_sgpr_private_segment_size 0
		.amdhsa_uses_dynamic_stack 0
		.amdhsa_enable_private_segment 0
		.amdhsa_system_sgpr_workgroup_id_x 1
		.amdhsa_system_sgpr_workgroup_id_y 0
		.amdhsa_system_sgpr_workgroup_id_z 0
		.amdhsa_system_sgpr_workgroup_info 0
		.amdhsa_system_vgpr_workitem_id 0
		.amdhsa_next_free_vgpr 41
		.amdhsa_next_free_sgpr 42
		.amdhsa_accum_offset 44
		.amdhsa_reserve_vcc 1
		.amdhsa_float_round_mode_32 0
		.amdhsa_float_round_mode_16_64 0
		.amdhsa_float_denorm_mode_32 3
		.amdhsa_float_denorm_mode_16_64 3
		.amdhsa_dx10_clamp 1
		.amdhsa_ieee_mode 1
		.amdhsa_fp16_overflow 0
		.amdhsa_tg_split 0
		.amdhsa_exception_fp_ieee_invalid_op 0
		.amdhsa_exception_fp_denorm_src 0
		.amdhsa_exception_fp_ieee_div_zero 0
		.amdhsa_exception_fp_ieee_overflow 0
		.amdhsa_exception_fp_ieee_underflow 0
		.amdhsa_exception_fp_ieee_inexact 0
		.amdhsa_exception_int_div_zero 0
	.end_amdhsa_kernel
	.section	.text._Z6kernelI9histogramILN6hipcub23BlockHistogramAlgorithmE0EEiLj256ELj2ELj256ELj100EEvPKT0_PS4_,"axG",@progbits,_Z6kernelI9histogramILN6hipcub23BlockHistogramAlgorithmE0EEiLj256ELj2ELj256ELj100EEvPKT0_PS4_,comdat
.Lfunc_end1:
	.size	_Z6kernelI9histogramILN6hipcub23BlockHistogramAlgorithmE0EEiLj256ELj2ELj256ELj100EEvPKT0_PS4_, .Lfunc_end1-_Z6kernelI9histogramILN6hipcub23BlockHistogramAlgorithmE0EEiLj256ELj2ELj256ELj100EEvPKT0_PS4_
                                        ; -- End function
	.section	.AMDGPU.csdata,"",@progbits
; Kernel info:
; codeLenInByte = 1308
; NumSgprs: 48
; NumVgprs: 41
; NumAgprs: 0
; TotalNumVgprs: 41
; ScratchSize: 0
; MemoryBound: 0
; FloatMode: 240
; IeeeMode: 1
; LDSByteSize: 1024 bytes/workgroup (compile time only)
; SGPRBlocks: 5
; VGPRBlocks: 5
; NumSGPRsForWavesPerEU: 48
; NumVGPRsForWavesPerEU: 41
; AccumOffset: 44
; Occupancy: 8
; WaveLimiterHint : 0
; COMPUTE_PGM_RSRC2:SCRATCH_EN: 0
; COMPUTE_PGM_RSRC2:USER_SGPR: 2
; COMPUTE_PGM_RSRC2:TRAP_HANDLER: 0
; COMPUTE_PGM_RSRC2:TGID_X_EN: 1
; COMPUTE_PGM_RSRC2:TGID_Y_EN: 0
; COMPUTE_PGM_RSRC2:TGID_Z_EN: 0
; COMPUTE_PGM_RSRC2:TIDIG_COMP_CNT: 0
; COMPUTE_PGM_RSRC3_GFX90A:ACCUM_OFFSET: 10
; COMPUTE_PGM_RSRC3_GFX90A:TG_SPLIT: 0
	.section	.text._Z6kernelI9histogramILN6hipcub23BlockHistogramAlgorithmE0EEiLj256ELj3ELj256ELj100EEvPKT0_PS4_,"axG",@progbits,_Z6kernelI9histogramILN6hipcub23BlockHistogramAlgorithmE0EEiLj256ELj3ELj256ELj100EEvPKT0_PS4_,comdat
	.protected	_Z6kernelI9histogramILN6hipcub23BlockHistogramAlgorithmE0EEiLj256ELj3ELj256ELj100EEvPKT0_PS4_ ; -- Begin function _Z6kernelI9histogramILN6hipcub23BlockHistogramAlgorithmE0EEiLj256ELj3ELj256ELj100EEvPKT0_PS4_
	.globl	_Z6kernelI9histogramILN6hipcub23BlockHistogramAlgorithmE0EEiLj256ELj3ELj256ELj100EEvPKT0_PS4_
	.p2align	8
	.type	_Z6kernelI9histogramILN6hipcub23BlockHistogramAlgorithmE0EEiLj256ELj3ELj256ELj100EEvPKT0_PS4_,@function
_Z6kernelI9histogramILN6hipcub23BlockHistogramAlgorithmE0EEiLj256ELj3ELj256ELj100EEvPKT0_PS4_: ; @_Z6kernelI9histogramILN6hipcub23BlockHistogramAlgorithmE0EEiLj256ELj3ELj256ELj100EEvPKT0_PS4_
; %bb.0:
	s_load_dwordx4 s[52:55], s[0:1], 0x0
	s_lshl_b32 s0, s2, 8
	v_or_b32_e32 v2, s0, v0
	v_lshl_add_u32 v4, v2, 1, v2
	v_mov_b32_e32 v5, 0
	s_waitcnt lgkmcnt(0)
	v_lshl_add_u64 v[6:7], v[4:5], 2, s[52:53]
	global_load_dword v35, v[6:7], off
	v_mov_b32_e32 v7, v5
	v_add_u32_e32 v6, 1, v4
	v_lshl_add_u64 v[6:7], v[6:7], 2, s[52:53]
	v_add_u32_e32 v4, 2, v4
	global_load_dword v52, v[6:7], off
	v_lshl_add_u64 v[6:7], v[4:5], 2, s[52:53]
	global_load_dword v53, v[6:7], off
	v_mov_b32_e32 v10, v5
	v_mov_b32_e32 v14, v5
	v_mov_b32_e32 v38, v5
	v_mov_b32_e32 v40, v5
	v_mov_b32_e32 v42, v5
	s_movk_i32 s0, 0x100
	v_mov_b32_e32 v44, v5
	v_cmp_gt_u32_e32 vcc, s0, v0
	v_mov_b32_e32 v18, v5
	v_mov_b32_e32 v22, v5
	v_mov_b32_e32 v46, v5
	v_mov_b32_e32 v8, v5
	v_mov_b32_e32 v12, v5
	v_mov_b32_e32 v16, v5
	v_mov_b32_e32 v20, v5
	v_mov_b32_e32 v24, v5
	v_mov_b32_e32 v26, v5
	v_mov_b32_e32 v28, v5
	v_mov_b32_e32 v48, v5
	v_mov_b32_e32 v30, v5
	v_mov_b32_e32 v32, v5
	v_mov_b32_e32 v36, v5
	v_mov_b32_e32 v50, v5
	s_movk_i32 s33, 0x64
	s_waitcnt vmcnt(2)
	v_lshlrev_b32_e32 v11, 29, v35
	v_lshlrev_b32_e32 v15, 27, v35
	v_cmp_gt_i64_e64 s[4:5], 0, v[10:11]
	v_not_b32_e32 v3, v11
	v_not_b32_e32 v11, v15
	v_cmp_gt_i64_e64 s[8:9], 0, v[14:15]
	v_ashrrev_i32_e32 v14, 31, v11
	s_waitcnt vmcnt(0)
	v_lshlrev_b32_e32 v39, 30, v53
	v_not_b32_e32 v11, v39
	v_lshlrev_b32_e32 v41, 29, v53
	v_cmp_gt_i64_e64 s[36:37], 0, v[38:39]
	v_ashrrev_i32_e32 v38, 31, v11
	v_not_b32_e32 v11, v41
	v_lshlrev_b32_e32 v43, 28, v53
	v_cmp_gt_i64_e64 s[38:39], 0, v[40:41]
	v_ashrrev_i32_e32 v40, 31, v11
	v_not_b32_e32 v11, v43
	v_lshlrev_b32_e32 v45, 27, v53
	v_and_b32_e32 v4, 1, v35
	v_cmp_gt_i64_e64 s[40:41], 0, v[42:43]
	v_ashrrev_i32_e32 v42, 31, v11
	v_not_b32_e32 v11, v45
	v_lshlrev_b32_e32 v47, 26, v53
	v_lshlrev_b32_e32 v19, 25, v35
	v_lshlrev_b32_e32 v23, 30, v52
	v_lshlrev_b32_e32 v33, 25, v52
	v_lshl_add_u64 v[6:7], v[4:5], 0, -1
	v_cmp_eq_u32_e64 s[0:1], 1, v4
	v_and_b32_e32 v4, 1, v52
	v_cmp_gt_i64_e64 s[42:43], 0, v[44:45]
	v_ashrrev_i32_e32 v44, 31, v11
	v_not_b32_e32 v11, v47
	v_lshlrev_b32_e32 v49, 25, v53
	v_lshlrev_b32_e32 v9, 30, v35
	;; [unrolled: 1-line block ×9, first 2 shown]
	v_cmp_gt_i64_e64 s[12:13], 0, v[18:19]
	v_not_b32_e32 v15, v19
	v_cmp_gt_i64_e64 s[16:17], 0, v[22:23]
	v_not_b32_e32 v19, v23
	v_lshl_add_u64 v[22:23], v[4:5], 0, -1
	v_cmp_eq_u32_e64 s[28:29], 1, v4
	v_not_b32_e32 v4, v33
	v_lshlrev_b32_e32 v37, 24, v52
	v_cmp_gt_i64_e64 s[44:45], 0, v[46:47]
	v_ashrrev_i32_e32 v46, 31, v11
	v_not_b32_e32 v11, v49
	v_lshlrev_b32_e32 v51, 24, v53
	v_cmp_gt_i64_e64 s[2:3], 0, v[8:9]
	v_not_b32_e32 v1, v9
	v_cmp_gt_i64_e64 s[6:7], 0, v[12:13]
	v_not_b32_e32 v9, v13
	;; [unrolled: 2-line block ×7, first 2 shown]
	v_not_b32_e32 v29, v31
	v_ashrrev_i32_e32 v34, 31, v4
	v_not_b32_e32 v4, v37
	v_cmp_gt_i64_e64 s[46:47], 0, v[48:49]
	v_ashrrev_i32_e32 v48, 31, v11
	v_not_b32_e32 v11, v51
	v_cmp_gt_i64_e64 s[24:25], 0, v[30:31]
	v_cmp_gt_i64_e64 s[26:27], 0, v[32:33]
	v_ashrrev_i32_e32 v8, 31, v1
	v_ashrrev_i32_e32 v10, 31, v3
	v_ashrrev_i32_e32 v12, 31, v9
	v_ashrrev_i32_e32 v16, 31, v13
	v_ashrrev_i32_e32 v18, 31, v15
	v_ashrrev_i32_e32 v20, 31, v17
	v_ashrrev_i32_e32 v24, 31, v19
	v_ashrrev_i32_e32 v26, 31, v21
	v_ashrrev_i32_e32 v28, 31, v25
	v_ashrrev_i32_e32 v30, 31, v27
	v_ashrrev_i32_e32 v32, 31, v29
	v_cmp_gt_i64_e64 s[30:31], 0, v[36:37]
	v_ashrrev_i32_e32 v36, 31, v4
	v_and_b32_e32 v4, 1, v53
	v_cmp_gt_i64_e64 s[48:49], 0, v[50:51]
	v_ashrrev_i32_e32 v50, 31, v11
	v_mov_b32_e32 v1, v8
	v_mov_b32_e32 v3, v10
	;; [unrolled: 1-line block ×3, first 2 shown]
	v_cmp_eq_u32_e64 s[34:35], 1, v4
	v_lshlrev_b32_e32 v51, 2, v0
	v_lshlrev_b32_e32 v54, 2, v35
	;; [unrolled: 1-line block ×4, first 2 shown]
	v_mov_b32_e32 v11, v14
	v_mov_b32_e32 v13, v16
	;; [unrolled: 1-line block ×11, first 2 shown]
	v_lshl_add_u64 v[52:53], v[4:5], 0, -1
	v_mov_b32_e32 v35, v38
	v_mov_b32_e32 v37, v40
	v_mov_b32_e32 v39, v42
	v_mov_b32_e32 v41, v44
	v_mov_b32_e32 v43, v46
	v_mov_b32_e32 v45, v48
	v_mov_b32_e32 v47, v50
	s_branch .LBB2_2
.LBB2_1:                                ;   in Loop: Header=BB2_2 Depth=1
	s_or_b64 exec, exec, s[52:53]
	s_add_i32 s33, s33, -1
	s_cmp_eq_u32 s33, 0
	s_waitcnt lgkmcnt(0)
	s_barrier
	s_cbranch_scc1 .LBB2_10
.LBB2_2:                                ; =>This Inner Loop Header: Depth=1
	s_and_saveexec_b64 s[50:51], vcc
	s_cbranch_execz .LBB2_4
; %bb.3:                                ;   in Loop: Header=BB2_2 Depth=1
	ds_write_b32 v51, v5
.LBB2_4:                                ;   in Loop: Header=BB2_2 Depth=1
	s_or_b64 exec, exec, s[50:51]
	v_cndmask_b32_e64 v0, 0, 1, s[0:1]
	v_cmp_ne_u32_e64 s[50:51], 0, v0
	v_cndmask_b32_e64 v49, 0, 1, s[2:3]
	s_waitcnt lgkmcnt(0)
	v_xor_b32_e32 v0, s51, v7
	v_xor_b32_e32 v4, s50, v6
	v_cmp_ne_u32_e64 s[50:51], 0, v49
	v_and_b32_e32 v0, exec_hi, v0
	v_and_b32_e32 v4, exec_lo, v4
	v_xor_b32_e32 v49, s51, v1
	v_and_b32_e32 v0, v0, v49
	v_cndmask_b32_e64 v49, 0, 1, s[4:5]
	v_xor_b32_e32 v57, s50, v8
	v_cmp_ne_u32_e64 s[50:51], 0, v49
	v_and_b32_e32 v4, v4, v57
	s_barrier
	v_xor_b32_e32 v49, s51, v3
	v_and_b32_e32 v0, v0, v49
	v_cndmask_b32_e64 v49, 0, 1, s[6:7]
	v_xor_b32_e32 v57, s50, v10
	v_cmp_ne_u32_e64 s[50:51], 0, v49
	v_and_b32_e32 v4, v4, v57
	s_nop 0
	v_xor_b32_e32 v49, s51, v9
	v_and_b32_e32 v0, v0, v49
	v_cndmask_b32_e64 v49, 0, 1, s[8:9]
	v_xor_b32_e32 v57, s50, v12
	v_cmp_ne_u32_e64 s[50:51], 0, v49
	v_and_b32_e32 v4, v4, v57
	s_nop 0
	;; [unrolled: 7-line block ×5, first 2 shown]
	v_xor_b32_e32 v49, s51, v17
	v_xor_b32_e32 v57, s50, v20
	v_and_b32_e32 v49, v0, v49
	v_and_b32_e32 v0, v4, v57
	v_mbcnt_lo_u32_b32 v4, v0, 0
	v_mbcnt_hi_u32_b32 v4, v49, v4
	v_cmp_eq_u32_e64 s[50:51], 0, v4
	s_and_saveexec_b64 s[52:53], s[50:51]
	s_cbranch_execz .LBB2_6
; %bb.5:                                ;   in Loop: Header=BB2_2 Depth=1
	v_bcnt_u32_b32 v0, v0, 0
	v_bcnt_u32_b32 v0, v49, v0
	ds_add_u32 v54, v0
.LBB2_6:                                ;   in Loop: Header=BB2_2 Depth=1
	s_or_b64 exec, exec, s[52:53]
	v_cndmask_b32_e64 v0, 0, 1, s[28:29]
	v_cmp_ne_u32_e64 s[50:51], 0, v0
	v_cndmask_b32_e64 v49, 0, 1, s[16:17]
	s_nop 0
	v_xor_b32_e32 v0, s51, v23
	v_xor_b32_e32 v4, s50, v22
	v_cmp_ne_u32_e64 s[50:51], 0, v49
	v_and_b32_e32 v0, exec_hi, v0
	v_and_b32_e32 v4, exec_lo, v4
	v_xor_b32_e32 v49, s51, v19
	v_and_b32_e32 v0, v0, v49
	v_cndmask_b32_e64 v49, 0, 1, s[18:19]
	v_xor_b32_e32 v57, s50, v24
	v_cmp_ne_u32_e64 s[50:51], 0, v49
	v_and_b32_e32 v4, v4, v57
	s_nop 0
	v_xor_b32_e32 v49, s51, v21
	v_and_b32_e32 v0, v0, v49
	v_cndmask_b32_e64 v49, 0, 1, s[20:21]
	v_xor_b32_e32 v57, s50, v26
	v_cmp_ne_u32_e64 s[50:51], 0, v49
	v_and_b32_e32 v4, v4, v57
	s_nop 0
	;; [unrolled: 7-line block ×6, first 2 shown]
	v_xor_b32_e32 v49, s51, v33
	v_xor_b32_e32 v57, s50, v36
	v_and_b32_e32 v49, v0, v49
	v_and_b32_e32 v0, v4, v57
	v_mbcnt_lo_u32_b32 v4, v0, 0
	v_mbcnt_hi_u32_b32 v4, v49, v4
	v_cmp_eq_u32_e64 s[50:51], 0, v4
	s_and_saveexec_b64 s[52:53], s[50:51]
	s_cbranch_execz .LBB2_8
; %bb.7:                                ;   in Loop: Header=BB2_2 Depth=1
	v_bcnt_u32_b32 v0, v0, 0
	v_bcnt_u32_b32 v0, v49, v0
	ds_add_u32 v55, v0
.LBB2_8:                                ;   in Loop: Header=BB2_2 Depth=1
	s_or_b64 exec, exec, s[52:53]
	v_cndmask_b32_e64 v0, 0, 1, s[34:35]
	v_cmp_ne_u32_e64 s[50:51], 0, v0
	v_cndmask_b32_e64 v49, 0, 1, s[36:37]
	s_nop 0
	v_xor_b32_e32 v0, s51, v53
	v_xor_b32_e32 v4, s50, v52
	v_cmp_ne_u32_e64 s[50:51], 0, v49
	v_and_b32_e32 v0, exec_hi, v0
	v_and_b32_e32 v4, exec_lo, v4
	v_xor_b32_e32 v49, s51, v35
	v_and_b32_e32 v0, v0, v49
	v_cndmask_b32_e64 v49, 0, 1, s[38:39]
	v_xor_b32_e32 v57, s50, v38
	v_cmp_ne_u32_e64 s[50:51], 0, v49
	v_and_b32_e32 v4, v4, v57
	s_nop 0
	v_xor_b32_e32 v49, s51, v37
	v_and_b32_e32 v0, v0, v49
	v_cndmask_b32_e64 v49, 0, 1, s[40:41]
	v_xor_b32_e32 v57, s50, v40
	v_cmp_ne_u32_e64 s[50:51], 0, v49
	v_and_b32_e32 v4, v4, v57
	s_nop 0
	;; [unrolled: 7-line block ×6, first 2 shown]
	v_xor_b32_e32 v49, s51, v47
	v_xor_b32_e32 v57, s50, v50
	v_and_b32_e32 v49, v0, v49
	v_and_b32_e32 v0, v4, v57
	v_mbcnt_lo_u32_b32 v4, v0, 0
	v_mbcnt_hi_u32_b32 v4, v49, v4
	v_cmp_eq_u32_e64 s[50:51], 0, v4
	s_and_saveexec_b64 s[52:53], s[50:51]
	s_cbranch_execz .LBB2_1
; %bb.9:                                ;   in Loop: Header=BB2_2 Depth=1
	v_bcnt_u32_b32 v0, v0, 0
	v_bcnt_u32_b32 v0, v49, v0
	ds_add_u32 v56, v0
	s_branch .LBB2_1
.LBB2_10:
	s_and_saveexec_b64 s[0:1], vcc
	s_cbranch_execz .LBB2_12
; %bb.11:
	ds_read_b32 v4, v51
	v_mov_b32_e32 v0, s54
	v_mov_b32_e32 v1, s55
	;; [unrolled: 1-line block ×3, first 2 shown]
	v_lshl_add_u64 v[0:1], v[2:3], 2, v[0:1]
	s_waitcnt lgkmcnt(0)
	global_store_dword v[0:1], v4, off
.LBB2_12:
	s_endpgm
	.section	.rodata,"a",@progbits
	.p2align	6, 0x0
	.amdhsa_kernel _Z6kernelI9histogramILN6hipcub23BlockHistogramAlgorithmE0EEiLj256ELj3ELj256ELj100EEvPKT0_PS4_
		.amdhsa_group_segment_fixed_size 1024
		.amdhsa_private_segment_fixed_size 0
		.amdhsa_kernarg_size 16
		.amdhsa_user_sgpr_count 2
		.amdhsa_user_sgpr_dispatch_ptr 0
		.amdhsa_user_sgpr_queue_ptr 0
		.amdhsa_user_sgpr_kernarg_segment_ptr 1
		.amdhsa_user_sgpr_dispatch_id 0
		.amdhsa_user_sgpr_kernarg_preload_length 0
		.amdhsa_user_sgpr_kernarg_preload_offset 0
		.amdhsa_user_sgpr_private_segment_size 0
		.amdhsa_uses_dynamic_stack 0
		.amdhsa_enable_private_segment 0
		.amdhsa_system_sgpr_workgroup_id_x 1
		.amdhsa_system_sgpr_workgroup_id_y 0
		.amdhsa_system_sgpr_workgroup_id_z 0
		.amdhsa_system_sgpr_workgroup_info 0
		.amdhsa_system_vgpr_workitem_id 0
		.amdhsa_next_free_vgpr 58
		.amdhsa_next_free_sgpr 56
		.amdhsa_accum_offset 60
		.amdhsa_reserve_vcc 1
		.amdhsa_float_round_mode_32 0
		.amdhsa_float_round_mode_16_64 0
		.amdhsa_float_denorm_mode_32 3
		.amdhsa_float_denorm_mode_16_64 3
		.amdhsa_dx10_clamp 1
		.amdhsa_ieee_mode 1
		.amdhsa_fp16_overflow 0
		.amdhsa_tg_split 0
		.amdhsa_exception_fp_ieee_invalid_op 0
		.amdhsa_exception_fp_denorm_src 0
		.amdhsa_exception_fp_ieee_div_zero 0
		.amdhsa_exception_fp_ieee_overflow 0
		.amdhsa_exception_fp_ieee_underflow 0
		.amdhsa_exception_fp_ieee_inexact 0
		.amdhsa_exception_int_div_zero 0
	.end_amdhsa_kernel
	.section	.text._Z6kernelI9histogramILN6hipcub23BlockHistogramAlgorithmE0EEiLj256ELj3ELj256ELj100EEvPKT0_PS4_,"axG",@progbits,_Z6kernelI9histogramILN6hipcub23BlockHistogramAlgorithmE0EEiLj256ELj3ELj256ELj100EEvPKT0_PS4_,comdat
.Lfunc_end2:
	.size	_Z6kernelI9histogramILN6hipcub23BlockHistogramAlgorithmE0EEiLj256ELj3ELj256ELj100EEvPKT0_PS4_, .Lfunc_end2-_Z6kernelI9histogramILN6hipcub23BlockHistogramAlgorithmE0EEiLj256ELj3ELj256ELj100EEvPKT0_PS4_
                                        ; -- End function
	.section	.AMDGPU.csdata,"",@progbits
; Kernel info:
; codeLenInByte = 1908
; NumSgprs: 62
; NumVgprs: 58
; NumAgprs: 0
; TotalNumVgprs: 58
; ScratchSize: 0
; MemoryBound: 0
; FloatMode: 240
; IeeeMode: 1
; LDSByteSize: 1024 bytes/workgroup (compile time only)
; SGPRBlocks: 7
; VGPRBlocks: 7
; NumSGPRsForWavesPerEU: 62
; NumVGPRsForWavesPerEU: 58
; AccumOffset: 60
; Occupancy: 8
; WaveLimiterHint : 0
; COMPUTE_PGM_RSRC2:SCRATCH_EN: 0
; COMPUTE_PGM_RSRC2:USER_SGPR: 2
; COMPUTE_PGM_RSRC2:TRAP_HANDLER: 0
; COMPUTE_PGM_RSRC2:TGID_X_EN: 1
; COMPUTE_PGM_RSRC2:TGID_Y_EN: 0
; COMPUTE_PGM_RSRC2:TGID_Z_EN: 0
; COMPUTE_PGM_RSRC2:TIDIG_COMP_CNT: 0
; COMPUTE_PGM_RSRC3_GFX90A:ACCUM_OFFSET: 14
; COMPUTE_PGM_RSRC3_GFX90A:TG_SPLIT: 0
	.section	.text._Z6kernelI9histogramILN6hipcub23BlockHistogramAlgorithmE0EEiLj256ELj4ELj256ELj100EEvPKT0_PS4_,"axG",@progbits,_Z6kernelI9histogramILN6hipcub23BlockHistogramAlgorithmE0EEiLj256ELj4ELj256ELj100EEvPKT0_PS4_,comdat
	.protected	_Z6kernelI9histogramILN6hipcub23BlockHistogramAlgorithmE0EEiLj256ELj4ELj256ELj100EEvPKT0_PS4_ ; -- Begin function _Z6kernelI9histogramILN6hipcub23BlockHistogramAlgorithmE0EEiLj256ELj4ELj256ELj100EEvPKT0_PS4_
	.globl	_Z6kernelI9histogramILN6hipcub23BlockHistogramAlgorithmE0EEiLj256ELj4ELj256ELj100EEvPKT0_PS4_
	.p2align	8
	.type	_Z6kernelI9histogramILN6hipcub23BlockHistogramAlgorithmE0EEiLj256ELj4ELj256ELj100EEvPKT0_PS4_,@function
_Z6kernelI9histogramILN6hipcub23BlockHistogramAlgorithmE0EEiLj256ELj4ELj256ELj100EEvPKT0_PS4_: ; @_Z6kernelI9histogramILN6hipcub23BlockHistogramAlgorithmE0EEiLj256ELj4ELj256ELj100EEvPKT0_PS4_
; %bb.0:
	s_load_dwordx4 s[68:71], s[0:1], 0x0
	v_lshlrev_b32_e32 v68, 2, v0
	v_lshl_or_b32 v6, s2, 10, v68
	v_mov_b32_e32 v7, 0
	s_movk_i32 s0, 0x100
	s_waitcnt lgkmcnt(0)
	v_mov_b32_e32 v2, s68
	v_mov_b32_e32 v3, s69
	v_lshl_add_u64 v[2:3], v[6:7], 2, v[2:3]
	global_load_dwordx4 v[2:5], v[2:3], off
	v_mov_b32_e32 v12, v7
	v_mov_b32_e32 v14, v7
	;; [unrolled: 1-line block ×3, first 2 shown]
	v_cmp_gt_u32_e32 vcc, s0, v0
	v_mov_b32_e32 v10, v7
	v_mov_b32_e32 v18, v7
	;; [unrolled: 1-line block ×25, first 2 shown]
	s_movk_i32 s3, 0x64
	s_waitcnt vmcnt(0)
	v_and_b32_e32 v6, 1, v2
	v_lshlrev_b32_e32 v11, 30, v2
	v_lshlrev_b32_e32 v13, 29, v2
	;; [unrolled: 1-line block ×5, first 2 shown]
	v_lshl_add_u64 v[8:9], v[6:7], 0, -1
	v_cmp_eq_u32_e64 s[0:1], 1, v6
	v_and_b32_e32 v6, 1, v3
	v_lshlrev_b32_e32 v21, 25, v2
	v_lshlrev_b32_e32 v23, 24, v2
	;; [unrolled: 1-line block ×14, first 2 shown]
	v_not_b32_e32 v1, v11
	v_cmp_gt_i64_e64 s[4:5], 0, v[12:13]
	v_not_b32_e32 v12, v13
	v_cmp_gt_i64_e64 s[6:7], 0, v[14:15]
	;; [unrolled: 2-line block ×3, first 2 shown]
	v_not_b32_e32 v15, v17
	v_not_b32_e32 v17, v19
	v_lshl_add_u64 v[2:3], v[6:7], 0, -1
	v_cmp_eq_u32_e64 s[26:27], 1, v6
	v_and_b32_e32 v6, 1, v4
	v_lshlrev_b32_e32 v45, 27, v4
	v_lshlrev_b32_e32 v47, 26, v4
	;; [unrolled: 1-line block ×13, first 2 shown]
	v_cmp_gt_i64_e64 s[66:67], 0, v[10:11]
	v_cmp_gt_i64_e64 s[10:11], 0, v[18:19]
	;; [unrolled: 1-line block ×3, first 2 shown]
	v_not_b32_e32 v19, v21
	v_cmp_gt_i64_e64 s[14:15], 0, v[22:23]
	v_not_b32_e32 v21, v23
	v_cmp_gt_i64_e64 s[16:17], 0, v[24:25]
	;; [unrolled: 2-line block ×4, first 2 shown]
	v_not_b32_e32 v27, v29
	v_not_b32_e32 v29, v31
	v_ashrrev_i32_e32 v4, 31, v1
	v_lshl_add_u64 v[10:11], v[6:7], 0, -1
	v_cmp_eq_u32_e64 s[28:29], 1, v6
	v_and_b32_e32 v6, 1, v5
	v_not_b32_e32 v1, v35
	v_ashrrev_i32_e32 v14, 31, v13
	v_not_b32_e32 v5, v37
	v_ashrrev_i32_e32 v16, 31, v15
	;; [unrolled: 2-line block ×3, first 2 shown]
	v_not_b32_e32 v15, v41
	v_not_b32_e32 v17, v43
	v_cmp_gt_i64_e64 s[22:23], 0, v[30:31]
	v_not_b32_e32 v31, v33
	v_cmp_gt_i64_e64 s[30:31], 0, v[34:35]
	v_cmp_gt_i64_e64 s[34:35], 0, v[36:37]
	;; [unrolled: 1-line block ×4, first 2 shown]
	v_ashrrev_i32_e32 v20, 31, v19
	v_cmp_gt_i64_e64 s[40:41], 0, v[42:43]
	v_ashrrev_i32_e32 v22, 31, v21
	v_not_b32_e32 v19, v45
	v_ashrrev_i32_e32 v24, 31, v23
	v_not_b32_e32 v21, v47
	v_ashrrev_i32_e32 v26, 31, v25
	v_not_b32_e32 v23, v49
	v_ashrrev_i32_e32 v28, 31, v27
	v_not_b32_e32 v25, v51
	v_ashrrev_i32_e32 v30, 31, v29
	v_not_b32_e32 v27, v53
	v_not_b32_e32 v29, v55
	v_ashrrev_i32_e32 v34, 31, v1
	v_not_b32_e32 v1, v57
	v_ashrrev_i32_e32 v36, 31, v5
	;; [unrolled: 2-line block ×5, first 2 shown]
	v_not_b32_e32 v17, v65
	v_cmp_gt_i64_e64 s[24:25], 0, v[32:33]
	v_ashrrev_i32_e32 v12, 31, v12
	v_cmp_gt_i64_e64 s[42:43], 0, v[44:45]
	v_cmp_gt_i64_e64 s[44:45], 0, v[46:47]
	;; [unrolled: 1-line block ×5, first 2 shown]
	v_ashrrev_i32_e32 v32, 31, v31
	v_cmp_gt_i64_e64 s[52:53], 0, v[54:55]
	v_cmp_gt_i64_e64 s[54:55], 0, v[56:57]
	;; [unrolled: 1-line block ×6, first 2 shown]
	v_ashrrev_i32_e32 v44, 31, v19
	v_ashrrev_i32_e32 v46, 31, v21
	;; [unrolled: 1-line block ×11, first 2 shown]
	v_cmp_eq_u32_e64 s[64:65], 1, v6
	v_mov_b32_e32 v1, v4
	v_mov_b32_e32 v5, v12
	;; [unrolled: 1-line block ×21, first 2 shown]
	v_lshl_add_u64 v[66:67], v[6:7], 0, -1
	v_mov_b32_e32 v51, v52
	v_mov_b32_e32 v53, v54
	;; [unrolled: 1-line block ×7, first 2 shown]
	s_branch .LBB3_2
.LBB3_1:                                ;   in Loop: Header=BB3_2 Depth=1
	s_or_b64 exec, exec, s[72:73]
	s_add_i32 s3, s3, -1
	s_cmp_eq_u32 s3, 0
	s_waitcnt lgkmcnt(0)
	s_barrier
	s_cbranch_scc1 .LBB3_12
.LBB3_2:                                ; =>This Inner Loop Header: Depth=1
	s_and_saveexec_b64 s[68:69], vcc
	s_cbranch_execz .LBB3_4
; %bb.3:                                ;   in Loop: Header=BB3_2 Depth=1
	ds_write_b32 v68, v7
.LBB3_4:                                ;   in Loop: Header=BB3_2 Depth=1
	s_or_b64 exec, exec, s[68:69]
	v_cndmask_b32_e64 v6, 0, 1, s[0:1]
	v_cmp_ne_u32_e64 s[68:69], 0, v6
	v_cndmask_b32_e64 v73, 0, 1, s[66:67]
	s_waitcnt lgkmcnt(0)
	v_xor_b32_e32 v6, s69, v9
	v_xor_b32_e32 v65, s68, v8
	v_cmp_ne_u32_e64 s[68:69], 0, v73
	v_and_b32_e32 v6, exec_hi, v6
	v_and_b32_e32 v65, exec_lo, v65
	v_xor_b32_e32 v73, s69, v1
	v_and_b32_e32 v6, v6, v73
	v_cndmask_b32_e64 v73, 0, 1, s[4:5]
	v_xor_b32_e32 v74, s68, v4
	v_cmp_ne_u32_e64 s[68:69], 0, v73
	v_and_b32_e32 v65, v65, v74
	s_barrier
	v_xor_b32_e32 v73, s69, v5
	v_and_b32_e32 v6, v6, v73
	v_cndmask_b32_e64 v73, 0, 1, s[6:7]
	v_xor_b32_e32 v74, s68, v12
	v_cmp_ne_u32_e64 s[68:69], 0, v73
	v_and_b32_e32 v65, v65, v74
	s_nop 0
	v_xor_b32_e32 v73, s69, v13
	v_and_b32_e32 v6, v6, v73
	v_cndmask_b32_e64 v73, 0, 1, s[8:9]
	v_xor_b32_e32 v74, s68, v14
	v_cmp_ne_u32_e64 s[68:69], 0, v73
	v_and_b32_e32 v65, v65, v74
	s_nop 0
	;; [unrolled: 7-line block ×4, first 2 shown]
	v_xor_b32_e32 v73, s69, v19
	v_xor_b32_e32 v74, s68, v20
	v_and_b32_e32 v6, v6, v73
	v_and_b32_e32 v73, v65, v74
	v_cndmask_b32_e64 v65, 0, 1, s[14:15]
	v_cmp_ne_u32_e64 s[68:69], 0, v65
	s_nop 1
	v_xor_b32_e32 v65, s69, v21
	v_xor_b32_e32 v74, s68, v22
	v_and_b32_e32 v65, v6, v65
	v_and_b32_e32 v6, v73, v74
	v_mbcnt_lo_u32_b32 v73, v6, 0
	v_mbcnt_hi_u32_b32 v73, v65, v73
	v_cmp_eq_u32_e64 s[68:69], 0, v73
	s_and_saveexec_b64 s[72:73], s[68:69]
	s_cbranch_execz .LBB3_6
; %bb.5:                                ;   in Loop: Header=BB3_2 Depth=1
	v_bcnt_u32_b32 v6, v6, 0
	v_bcnt_u32_b32 v6, v65, v6
	ds_add_u32 v69, v6
.LBB3_6:                                ;   in Loop: Header=BB3_2 Depth=1
	s_or_b64 exec, exec, s[72:73]
	v_cndmask_b32_e64 v6, 0, 1, s[26:27]
	v_cmp_ne_u32_e64 s[68:69], 0, v6
	v_cndmask_b32_e64 v73, 0, 1, s[16:17]
	s_nop 0
	v_xor_b32_e32 v6, s69, v3
	v_xor_b32_e32 v65, s68, v2
	v_cmp_ne_u32_e64 s[68:69], 0, v73
	v_and_b32_e32 v6, exec_hi, v6
	v_and_b32_e32 v65, exec_lo, v65
	v_xor_b32_e32 v73, s69, v23
	v_and_b32_e32 v6, v6, v73
	v_cndmask_b32_e64 v73, 0, 1, s[18:19]
	v_xor_b32_e32 v74, s68, v24
	v_cmp_ne_u32_e64 s[68:69], 0, v73
	v_and_b32_e32 v65, v65, v74
	s_nop 0
	v_xor_b32_e32 v73, s69, v25
	v_and_b32_e32 v6, v6, v73
	v_cndmask_b32_e64 v73, 0, 1, s[20:21]
	v_xor_b32_e32 v74, s68, v26
	v_cmp_ne_u32_e64 s[68:69], 0, v73
	v_and_b32_e32 v65, v65, v74
	s_nop 0
	;; [unrolled: 7-line block ×5, first 2 shown]
	v_xor_b32_e32 v73, s69, v33
	v_xor_b32_e32 v74, s68, v34
	v_and_b32_e32 v6, v6, v73
	v_and_b32_e32 v73, v65, v74
	v_cndmask_b32_e64 v65, 0, 1, s[34:35]
	v_cmp_ne_u32_e64 s[68:69], 0, v65
	s_nop 1
	v_xor_b32_e32 v65, s69, v35
	v_xor_b32_e32 v74, s68, v36
	v_and_b32_e32 v65, v6, v65
	v_and_b32_e32 v6, v73, v74
	v_mbcnt_lo_u32_b32 v73, v6, 0
	v_mbcnt_hi_u32_b32 v73, v65, v73
	v_cmp_eq_u32_e64 s[68:69], 0, v73
	s_and_saveexec_b64 s[72:73], s[68:69]
	s_cbranch_execz .LBB3_8
; %bb.7:                                ;   in Loop: Header=BB3_2 Depth=1
	v_bcnt_u32_b32 v6, v6, 0
	v_bcnt_u32_b32 v6, v65, v6
	ds_add_u32 v70, v6
.LBB3_8:                                ;   in Loop: Header=BB3_2 Depth=1
	s_or_b64 exec, exec, s[72:73]
	v_cndmask_b32_e64 v6, 0, 1, s[28:29]
	v_cmp_ne_u32_e64 s[68:69], 0, v6
	v_cndmask_b32_e64 v73, 0, 1, s[36:37]
	s_nop 0
	v_xor_b32_e32 v6, s69, v11
	v_xor_b32_e32 v65, s68, v10
	v_cmp_ne_u32_e64 s[68:69], 0, v73
	v_and_b32_e32 v6, exec_hi, v6
	v_and_b32_e32 v65, exec_lo, v65
	v_xor_b32_e32 v73, s69, v37
	v_and_b32_e32 v6, v6, v73
	v_cndmask_b32_e64 v73, 0, 1, s[38:39]
	v_xor_b32_e32 v74, s68, v38
	v_cmp_ne_u32_e64 s[68:69], 0, v73
	v_and_b32_e32 v65, v65, v74
	s_nop 0
	v_xor_b32_e32 v73, s69, v39
	v_and_b32_e32 v6, v6, v73
	v_cndmask_b32_e64 v73, 0, 1, s[40:41]
	v_xor_b32_e32 v74, s68, v40
	v_cmp_ne_u32_e64 s[68:69], 0, v73
	v_and_b32_e32 v65, v65, v74
	s_nop 0
	;; [unrolled: 7-line block ×5, first 2 shown]
	v_xor_b32_e32 v73, s69, v47
	v_xor_b32_e32 v74, s68, v48
	v_and_b32_e32 v6, v6, v73
	v_and_b32_e32 v73, v65, v74
	v_cndmask_b32_e64 v65, 0, 1, s[48:49]
	v_cmp_ne_u32_e64 s[68:69], 0, v65
	s_nop 1
	v_xor_b32_e32 v65, s69, v49
	v_xor_b32_e32 v74, s68, v50
	v_and_b32_e32 v65, v6, v65
	v_and_b32_e32 v6, v73, v74
	v_mbcnt_lo_u32_b32 v73, v6, 0
	v_mbcnt_hi_u32_b32 v73, v65, v73
	v_cmp_eq_u32_e64 s[68:69], 0, v73
	s_and_saveexec_b64 s[72:73], s[68:69]
	s_cbranch_execz .LBB3_10
; %bb.9:                                ;   in Loop: Header=BB3_2 Depth=1
	v_bcnt_u32_b32 v6, v6, 0
	v_bcnt_u32_b32 v6, v65, v6
	ds_add_u32 v71, v6
.LBB3_10:                               ;   in Loop: Header=BB3_2 Depth=1
	s_or_b64 exec, exec, s[72:73]
	v_cndmask_b32_e64 v6, 0, 1, s[64:65]
	v_cmp_ne_u32_e64 s[68:69], 0, v6
	v_cndmask_b32_e64 v73, 0, 1, s[50:51]
	s_nop 0
	v_xor_b32_e32 v6, s69, v67
	v_xor_b32_e32 v65, s68, v66
	v_cmp_ne_u32_e64 s[68:69], 0, v73
	v_and_b32_e32 v6, exec_hi, v6
	v_and_b32_e32 v65, exec_lo, v65
	v_xor_b32_e32 v73, s69, v51
	v_and_b32_e32 v6, v6, v73
	v_cndmask_b32_e64 v73, 0, 1, s[52:53]
	v_xor_b32_e32 v74, s68, v52
	v_cmp_ne_u32_e64 s[68:69], 0, v73
	v_and_b32_e32 v65, v65, v74
	s_nop 0
	v_xor_b32_e32 v73, s69, v53
	v_and_b32_e32 v6, v6, v73
	v_cndmask_b32_e64 v73, 0, 1, s[54:55]
	v_xor_b32_e32 v74, s68, v54
	v_cmp_ne_u32_e64 s[68:69], 0, v73
	v_and_b32_e32 v65, v65, v74
	s_nop 0
	;; [unrolled: 7-line block ×5, first 2 shown]
	v_xor_b32_e32 v73, s69, v61
	v_xor_b32_e32 v74, s68, v62
	v_and_b32_e32 v6, v6, v73
	v_and_b32_e32 v73, v65, v74
	v_cndmask_b32_e64 v65, 0, 1, s[62:63]
	v_cmp_ne_u32_e64 s[68:69], 0, v65
	s_nop 1
	v_xor_b32_e32 v65, s69, v63
	v_xor_b32_e32 v74, s68, v64
	v_and_b32_e32 v65, v6, v65
	v_and_b32_e32 v6, v73, v74
	v_mbcnt_lo_u32_b32 v73, v6, 0
	v_mbcnt_hi_u32_b32 v73, v65, v73
	v_cmp_eq_u32_e64 s[68:69], 0, v73
	s_and_saveexec_b64 s[72:73], s[68:69]
	s_cbranch_execz .LBB3_1
; %bb.11:                               ;   in Loop: Header=BB3_2 Depth=1
	v_bcnt_u32_b32 v6, v6, 0
	v_bcnt_u32_b32 v6, v65, v6
	ds_add_u32 v72, v6
	s_branch .LBB3_1
.LBB3_12:
	s_and_saveexec_b64 s[0:1], vcc
	s_cbranch_execz .LBB3_14
; %bb.13:
	ds_read_b32 v4, v68
	v_mov_b32_e32 v2, s70
	v_mov_b32_e32 v3, s71
	v_lshl_or_b32 v0, s2, 8, v0
	v_mov_b32_e32 v1, 0
	v_lshl_add_u64 v[0:1], v[0:1], 2, v[2:3]
	s_waitcnt lgkmcnt(0)
	global_store_dword v[0:1], v4, off
.LBB3_14:
	s_endpgm
	.section	.rodata,"a",@progbits
	.p2align	6, 0x0
	.amdhsa_kernel _Z6kernelI9histogramILN6hipcub23BlockHistogramAlgorithmE0EEiLj256ELj4ELj256ELj100EEvPKT0_PS4_
		.amdhsa_group_segment_fixed_size 1024
		.amdhsa_private_segment_fixed_size 0
		.amdhsa_kernarg_size 16
		.amdhsa_user_sgpr_count 2
		.amdhsa_user_sgpr_dispatch_ptr 0
		.amdhsa_user_sgpr_queue_ptr 0
		.amdhsa_user_sgpr_kernarg_segment_ptr 1
		.amdhsa_user_sgpr_dispatch_id 0
		.amdhsa_user_sgpr_kernarg_preload_length 0
		.amdhsa_user_sgpr_kernarg_preload_offset 0
		.amdhsa_user_sgpr_private_segment_size 0
		.amdhsa_uses_dynamic_stack 0
		.amdhsa_enable_private_segment 0
		.amdhsa_system_sgpr_workgroup_id_x 1
		.amdhsa_system_sgpr_workgroup_id_y 0
		.amdhsa_system_sgpr_workgroup_id_z 0
		.amdhsa_system_sgpr_workgroup_info 0
		.amdhsa_system_vgpr_workitem_id 0
		.amdhsa_next_free_vgpr 75
		.amdhsa_next_free_sgpr 74
		.amdhsa_accum_offset 76
		.amdhsa_reserve_vcc 1
		.amdhsa_float_round_mode_32 0
		.amdhsa_float_round_mode_16_64 0
		.amdhsa_float_denorm_mode_32 3
		.amdhsa_float_denorm_mode_16_64 3
		.amdhsa_dx10_clamp 1
		.amdhsa_ieee_mode 1
		.amdhsa_fp16_overflow 0
		.amdhsa_tg_split 0
		.amdhsa_exception_fp_ieee_invalid_op 0
		.amdhsa_exception_fp_denorm_src 0
		.amdhsa_exception_fp_ieee_div_zero 0
		.amdhsa_exception_fp_ieee_overflow 0
		.amdhsa_exception_fp_ieee_underflow 0
		.amdhsa_exception_fp_ieee_inexact 0
		.amdhsa_exception_int_div_zero 0
	.end_amdhsa_kernel
	.section	.text._Z6kernelI9histogramILN6hipcub23BlockHistogramAlgorithmE0EEiLj256ELj4ELj256ELj100EEvPKT0_PS4_,"axG",@progbits,_Z6kernelI9histogramILN6hipcub23BlockHistogramAlgorithmE0EEiLj256ELj4ELj256ELj100EEvPKT0_PS4_,comdat
.Lfunc_end3:
	.size	_Z6kernelI9histogramILN6hipcub23BlockHistogramAlgorithmE0EEiLj256ELj4ELj256ELj100EEvPKT0_PS4_, .Lfunc_end3-_Z6kernelI9histogramILN6hipcub23BlockHistogramAlgorithmE0EEiLj256ELj4ELj256ELj100EEvPKT0_PS4_
                                        ; -- End function
	.section	.AMDGPU.csdata,"",@progbits
; Kernel info:
; codeLenInByte = 2432
; NumSgprs: 80
; NumVgprs: 75
; NumAgprs: 0
; TotalNumVgprs: 75
; ScratchSize: 0
; MemoryBound: 0
; FloatMode: 240
; IeeeMode: 1
; LDSByteSize: 1024 bytes/workgroup (compile time only)
; SGPRBlocks: 9
; VGPRBlocks: 9
; NumSGPRsForWavesPerEU: 80
; NumVGPRsForWavesPerEU: 75
; AccumOffset: 76
; Occupancy: 6
; WaveLimiterHint : 0
; COMPUTE_PGM_RSRC2:SCRATCH_EN: 0
; COMPUTE_PGM_RSRC2:USER_SGPR: 2
; COMPUTE_PGM_RSRC2:TRAP_HANDLER: 0
; COMPUTE_PGM_RSRC2:TGID_X_EN: 1
; COMPUTE_PGM_RSRC2:TGID_Y_EN: 0
; COMPUTE_PGM_RSRC2:TGID_Z_EN: 0
; COMPUTE_PGM_RSRC2:TIDIG_COMP_CNT: 0
; COMPUTE_PGM_RSRC3_GFX90A:ACCUM_OFFSET: 18
; COMPUTE_PGM_RSRC3_GFX90A:TG_SPLIT: 0
	.section	.text._Z6kernelI9histogramILN6hipcub23BlockHistogramAlgorithmE0EEiLj256ELj8ELj256ELj100EEvPKT0_PS4_,"axG",@progbits,_Z6kernelI9histogramILN6hipcub23BlockHistogramAlgorithmE0EEiLj256ELj8ELj256ELj100EEvPKT0_PS4_,comdat
	.protected	_Z6kernelI9histogramILN6hipcub23BlockHistogramAlgorithmE0EEiLj256ELj8ELj256ELj100EEvPKT0_PS4_ ; -- Begin function _Z6kernelI9histogramILN6hipcub23BlockHistogramAlgorithmE0EEiLj256ELj8ELj256ELj100EEvPKT0_PS4_
	.globl	_Z6kernelI9histogramILN6hipcub23BlockHistogramAlgorithmE0EEiLj256ELj8ELj256ELj100EEvPKT0_PS4_
	.p2align	8
	.type	_Z6kernelI9histogramILN6hipcub23BlockHistogramAlgorithmE0EEiLj256ELj8ELj256ELj100EEvPKT0_PS4_,@function
_Z6kernelI9histogramILN6hipcub23BlockHistogramAlgorithmE0EEiLj256ELj8ELj256ELj100EEvPKT0_PS4_: ; @_Z6kernelI9histogramILN6hipcub23BlockHistogramAlgorithmE0EEiLj256ELj8ELj256ELj100EEvPKT0_PS4_
; %bb.0:
	s_load_dwordx4 s[4:7], s[0:1], 0x0
	v_lshlrev_b32_e32 v1, 3, v0
                                        ; implicit-def: $vgpr177 : SGPR spill to VGPR lane
	v_lshl_or_b32 v6, s2, 11, v1
	v_mov_b32_e32 v7, 0
	v_mov_b32_e32 v20, v7
	s_waitcnt lgkmcnt(0)
	v_mov_b32_e32 v2, s4
	v_writelane_b32 v177, s4, 0
	v_mov_b32_e32 v22, v7
	v_mov_b32_e32 v24, v7
	;; [unrolled: 1-line block ×3, first 2 shown]
	v_lshl_add_u64 v[8:9], v[6:7], 2, v[2:3]
	global_load_dwordx4 v[2:5], v[8:9], off
	global_load_dwordx4 v[16:19], v[8:9], off offset:16
	v_writelane_b32 v177, s5, 1
	v_writelane_b32 v177, s6, 2
	;; [unrolled: 1-line block ×4, first 2 shown]
	v_mov_b32_e32 v26, v7
	v_mov_b32_e32 v28, v7
	;; [unrolled: 1-line block ×53, first 2 shown]
	v_lshlrev_b32_e32 v176, 2, v0
	s_movk_i32 s33, 0x64
	s_waitcnt vmcnt(1)
	v_and_b32_e32 v6, 1, v2
	v_cmp_eq_u32_e64 s[0:1], 1, v6
	v_lshl_add_u64 v[8:9], v[6:7], 0, -1
	v_and_b32_e32 v6, 1, v3
	v_writelane_b32 v177, s0, 5
	v_lshlrev_b32_e32 v21, 30, v2
	v_lshlrev_b32_e32 v23, 29, v2
	v_writelane_b32 v177, s1, 6
	v_cmp_eq_u32_e64 s[0:1], 1, v6
	v_lshlrev_b32_e32 v25, 28, v2
	v_lshlrev_b32_e32 v27, 27, v2
	;; [unrolled: 1-line block ×14, first 2 shown]
	v_lshl_add_u64 v[2:3], v[6:7], 0, -1
	v_writelane_b32 v177, s0, 7
	v_and_b32_e32 v6, 1, v4
	v_lshl_add_u64 v[10:11], v[6:7], 0, -1
	v_writelane_b32 v177, s1, 8
	v_cmp_eq_u32_e64 s[0:1], 1, v6
	v_and_b32_e32 v6, 1, v5
	v_lshlrev_b32_e32 v49, 30, v4
	v_writelane_b32 v177, s0, 9
	v_lshlrev_b32_e32 v51, 29, v4
	v_lshlrev_b32_e32 v53, 28, v4
	v_writelane_b32 v177, s1, 10
	v_cmp_eq_u32_e64 s[0:1], 1, v6
	v_lshlrev_b32_e32 v55, 27, v4
	v_lshlrev_b32_e32 v57, 26, v4
	;; [unrolled: 1-line block ×13, first 2 shown]
	v_writelane_b32 v177, s0, 11
	v_lshl_add_u64 v[4:5], v[6:7], 0, -1
	s_waitcnt vmcnt(0)
	v_and_b32_e32 v6, 1, v16
	v_writelane_b32 v177, s1, 12
	v_cmp_eq_u32_e64 s[0:1], 1, v6
	v_lshl_add_u64 v[12:13], v[6:7], 0, -1
	v_and_b32_e32 v6, 1, v17
	v_writelane_b32 v177, s0, 13
	v_lshl_add_u64 v[14:15], v[6:7], 0, -1
	v_lshlrev_b32_e32 v163, 28, v17
	v_writelane_b32 v177, s1, 14
	v_cmp_eq_u32_e64 s[0:1], 1, v6
	v_and_b32_e32 v6, 1, v18
	v_not_b32_e32 v1, v21
	v_writelane_b32 v177, s0, 15
	v_lshlrev_b32_e32 v174, 2, v18
	v_lshlrev_b32_e32 v159, 27, v17
	v_writelane_b32 v177, s1, 16
	v_cmp_eq_u32_e64 s[0:1], 1, v6
	v_lshlrev_b32_e32 v143, 30, v18
	v_lshlrev_b32_e32 v139, 29, v18
	v_writelane_b32 v177, s0, 17
	v_lshlrev_b32_e32 v161, 28, v18
	v_lshlrev_b32_e32 v157, 27, v18
	v_writelane_b32 v177, s1, 18
	v_cmp_gt_i64_e64 s[0:1], 0, v[20:21]
	v_lshlrev_b32_e32 v153, 26, v18
	v_lshlrev_b32_e32 v149, 25, v18
	;; [unrolled: 1-line block ×3, first 2 shown]
	v_writelane_b32 v177, s0, 19
	v_ashrrev_i32_e32 v18, 31, v1
	v_not_b32_e32 v1, v163
	v_lshlrev_b32_e32 v155, 26, v17
	v_writelane_b32 v177, s1, 20
	v_cmp_gt_i64_e64 s[0:1], 0, v[22:23]
	v_ashrrev_i32_e32 v92, 31, v1
	v_not_b32_e32 v1, v159
	v_lshlrev_b32_e32 v151, 25, v17
	v_writelane_b32 v177, s0, 21
	v_ashrrev_i32_e32 v94, 31, v1
	v_not_b32_e32 v1, v155
	v_lshlrev_b32_e32 v147, 24, v17
	v_writelane_b32 v177, s1, 22
	v_cmp_gt_i64_e64 s[0:1], 0, v[24:25]
	v_ashrrev_i32_e32 v96, 31, v1
	v_not_b32_e32 v1, v151
	v_writelane_b32 v177, s0, 23
	v_ashrrev_i32_e32 v98, 31, v1
	v_not_b32_e32 v1, v147
	v_writelane_b32 v177, s1, 24
	v_cmp_gt_i64_e64 s[0:1], 0, v[26:27]
	v_ashrrev_i32_e32 v100, 31, v1
	v_not_b32_e32 v1, v143
	v_writelane_b32 v177, s0, 25
	v_ashrrev_i32_e32 v102, 31, v1
	v_not_b32_e32 v1, v139
	;; [unrolled: 7-line block ×3, first 2 shown]
	v_lshlrev_b32_e32 v111, 25, v16
	v_writelane_b32 v177, s1, 28
	v_cmp_gt_i64_e64 s[0:1], 0, v[30:31]
	v_ashrrev_i32_e32 v108, 31, v1
	v_not_b32_e32 v1, v153
	v_lshlrev_b32_e32 v113, 24, v16
	v_writelane_b32 v177, s0, 29
	v_cmp_gt_i64_e64 s[82:83], 0, v[110:111]
	v_ashrrev_i32_e32 v110, 31, v1
	v_not_b32_e32 v1, v149
	v_lshlrev_b32_e32 v115, 30, v17
	v_lshlrev_b32_e32 v141, 30, v19
	v_writelane_b32 v177, s1, 30
	v_cmp_gt_i64_e64 s[0:1], 0, v[32:33]
	v_cmp_gt_i64_e64 s[84:85], 0, v[112:113]
	v_ashrrev_i32_e32 v112, 31, v1
	v_not_b32_e32 v1, v145
	v_lshlrev_b32_e32 v117, 29, v17
	v_lshlrev_b32_e32 v137, 29, v19
	v_writelane_b32 v177, s0, 31
	v_cmp_gt_i64_e64 s[86:87], 0, v[114:115]
	v_ashrrev_i32_e32 v114, 31, v1
	v_not_b32_e32 v1, v141
	v_lshlrev_b32_e32 v135, 28, v19
	v_writelane_b32 v177, s1, 32
	v_cmp_gt_i64_e64 s[0:1], 0, v[34:35]
	v_cmp_gt_i64_e64 s[88:89], 0, v[116:117]
	v_ashrrev_i32_e32 v116, 31, v1
	v_not_b32_e32 v1, v137
	v_lshlrev_b32_e32 v133, 27, v19
	v_writelane_b32 v177, s0, 33
	v_ashrrev_i32_e32 v118, 31, v1
	v_not_b32_e32 v1, v135
	v_lshlrev_b32_e32 v131, 26, v19
	v_writelane_b32 v177, s1, 34
	v_cmp_gt_i64_e64 s[0:1], 0, v[36:37]
	v_ashrrev_i32_e32 v120, 31, v1
	v_not_b32_e32 v1, v133
	v_lshlrev_b32_e32 v167, 25, v19
	v_writelane_b32 v177, s0, 35
	v_ashrrev_i32_e32 v122, 31, v1
	v_not_b32_e32 v1, v131
	v_lshlrev_b32_e32 v77, 30, v16
	v_lshlrev_b32_e32 v79, 29, v16
	;; [unrolled: 1-line block ×6, first 2 shown]
	v_writelane_b32 v177, s1, 36
	v_cmp_gt_i64_e64 s[0:1], 0, v[38:39]
	v_ashrrev_i32_e32 v124, 31, v1
	v_not_b32_e32 v1, v167
	v_lshlrev_b32_e32 v172, 2, v16
	v_lshlrev_b32_e32 v173, 2, v17
	;; [unrolled: 1-line block ×3, first 2 shown]
	v_lshl_add_u64 v[16:17], v[6:7], 0, -1
	v_and_b32_e32 v6, 1, v19
	v_not_b32_e32 v19, v23
	v_not_b32_e32 v21, v25
	;; [unrolled: 1-line block ×8, first 2 shown]
	v_writelane_b32 v177, s0, 37
	v_not_b32_e32 v35, v39
	v_cmp_gt_i64_e64 s[34:35], 0, v[40:41]
	v_not_b32_e32 v37, v41
	v_cmp_gt_i64_e64 s[36:37], 0, v[42:43]
	;; [unrolled: 2-line block ×23, first 2 shown]
	v_not_b32_e32 v81, v85
	v_not_b32_e32 v83, v111
	;; [unrolled: 1-line block ×5, first 2 shown]
	v_ashrrev_i32_e32 v126, 31, v1
	v_not_b32_e32 v1, v165
	v_writelane_b32 v177, s1, 38
	s_movk_i32 s0, 0x100
	v_ashrrev_i32_e32 v20, 31, v19
	v_ashrrev_i32_e32 v22, 31, v21
	;; [unrolled: 1-line block ×37, first 2 shown]
	v_cmp_gt_u32_e64 s[80:81], s0, v0
	v_mov_b32_e32 v1, v18
	v_mov_b32_e32 v19, v20
	;; [unrolled: 1-line block ×31, first 2 shown]
	v_cmp_gt_i64_e64 s[90:91], 0, v[162:163]
	v_mov_b32_e32 v79, v80
	v_cmp_gt_i64_e64 s[92:93], 0, v[158:159]
	v_mov_b32_e32 v81, v82
	;; [unrolled: 2-line block ×18, first 2 shown]
	v_cmp_gt_i64_e64 s[26:27], 0, v[164:165]
	v_cmp_eq_u32_e64 s[30:31], 1, v6
	v_lshl_add_u64 v[130:131], v[6:7], 0, -1
	v_mov_b32_e32 v115, v116
	v_mov_b32_e32 v117, v118
	;; [unrolled: 1-line block ×7, first 2 shown]
	s_branch .LBB4_2
.LBB4_1:                                ;   in Loop: Header=BB4_2 Depth=1
	s_or_b64 exec, exec, s[2:3]
	s_add_i32 s33, s33, -1
	s_cmp_eq_u32 s33, 0
	s_waitcnt lgkmcnt(0)
	s_barrier
	s_cbranch_scc1 .LBB4_20
.LBB4_2:                                ; =>This Inner Loop Header: Depth=1
	s_and_saveexec_b64 s[2:3], s[80:81]
	s_cbranch_execz .LBB4_4
; %bb.3:                                ;   in Loop: Header=BB4_2 Depth=1
	ds_write_b32 v176, v7
.LBB4_4:                                ;   in Loop: Header=BB4_2 Depth=1
	s_or_b64 exec, exec, s[2:3]
	v_readlane_b32 s2, v177, 5
	v_readlane_b32 s3, v177, 6
	s_waitcnt lgkmcnt(0)
	s_barrier
	v_cndmask_b32_e64 v6, 0, 1, s[2:3]
	v_readlane_b32 s2, v177, 19
	v_readlane_b32 s3, v177, 20
	v_cmp_ne_u32_e32 vcc, 0, v6
	s_nop 0
	v_cndmask_b32_e64 v132, 0, 1, s[2:3]
	v_xor_b32_e32 v6, vcc_hi, v9
	v_xor_b32_e32 v129, vcc_lo, v8
	v_cmp_ne_u32_e32 vcc, 0, v132
	v_readlane_b32 s2, v177, 21
	v_and_b32_e32 v6, exec_hi, v6
	v_xor_b32_e32 v132, vcc_hi, v1
	v_readlane_b32 s3, v177, 22
	v_and_b32_e32 v6, v6, v132
	v_xor_b32_e32 v133, vcc_lo, v18
	v_cndmask_b32_e64 v132, 0, 1, s[2:3]
	v_cmp_ne_u32_e32 vcc, 0, v132
	v_readlane_b32 s2, v177, 23
	v_readlane_b32 s3, v177, 24
	v_xor_b32_e32 v132, vcc_hi, v19
	v_and_b32_e32 v129, exec_lo, v129
	v_and_b32_e32 v6, v6, v132
	v_cndmask_b32_e64 v132, 0, 1, s[2:3]
	v_and_b32_e32 v129, v129, v133
	v_xor_b32_e32 v133, vcc_lo, v20
	v_cmp_ne_u32_e32 vcc, 0, v132
	v_readlane_b32 s2, v177, 25
	v_readlane_b32 s3, v177, 26
	v_xor_b32_e32 v132, vcc_hi, v21
	v_and_b32_e32 v6, v6, v132
	v_cndmask_b32_e64 v132, 0, 1, s[2:3]
	v_and_b32_e32 v129, v129, v133
	v_xor_b32_e32 v133, vcc_lo, v22
	v_cmp_ne_u32_e32 vcc, 0, v132
	v_readlane_b32 s2, v177, 27
	v_readlane_b32 s3, v177, 28
	v_xor_b32_e32 v132, vcc_hi, v23
	v_and_b32_e32 v6, v6, v132
	v_cndmask_b32_e64 v132, 0, 1, s[2:3]
	v_and_b32_e32 v129, v129, v133
	v_xor_b32_e32 v133, vcc_lo, v24
	v_cmp_ne_u32_e32 vcc, 0, v132
	v_readlane_b32 s2, v177, 29
	v_readlane_b32 s3, v177, 30
	v_xor_b32_e32 v132, vcc_hi, v25
	v_and_b32_e32 v6, v6, v132
	v_cndmask_b32_e64 v132, 0, 1, s[2:3]
	v_and_b32_e32 v129, v129, v133
	v_xor_b32_e32 v133, vcc_lo, v26
	v_cmp_ne_u32_e32 vcc, 0, v132
	v_readlane_b32 s2, v177, 31
	v_and_b32_e32 v129, v129, v133
	v_xor_b32_e32 v132, vcc_hi, v27
	v_xor_b32_e32 v133, vcc_lo, v28
	v_readlane_b32 s3, v177, 32
	v_and_b32_e32 v6, v6, v132
	v_and_b32_e32 v132, v129, v133
	v_cndmask_b32_e64 v129, 0, 1, s[2:3]
	v_cmp_ne_u32_e32 vcc, 0, v129
	s_nop 1
	v_xor_b32_e32 v129, vcc_hi, v29
	v_xor_b32_e32 v133, vcc_lo, v30
	v_and_b32_e32 v129, v6, v129
	v_and_b32_e32 v6, v132, v133
	v_mbcnt_lo_u32_b32 v132, v6, 0
	v_mbcnt_hi_u32_b32 v132, v129, v132
	v_cmp_eq_u32_e32 vcc, 0, v132
	s_and_saveexec_b64 s[2:3], vcc
	s_cbranch_execz .LBB4_6
; %bb.5:                                ;   in Loop: Header=BB4_2 Depth=1
	v_bcnt_u32_b32 v6, v6, 0
	v_bcnt_u32_b32 v6, v129, v6
	ds_add_u32 v168, v6
.LBB4_6:                                ;   in Loop: Header=BB4_2 Depth=1
	s_or_b64 exec, exec, s[2:3]
	v_readlane_b32 s2, v177, 7
	v_readlane_b32 s3, v177, 8
	s_nop 1
	v_cndmask_b32_e64 v6, 0, 1, s[2:3]
	v_readlane_b32 s2, v177, 33
	v_readlane_b32 s3, v177, 34
	v_cmp_ne_u32_e32 vcc, 0, v6
	s_nop 0
	v_cndmask_b32_e64 v132, 0, 1, s[2:3]
	v_xor_b32_e32 v6, vcc_hi, v3
	v_xor_b32_e32 v129, vcc_lo, v2
	v_cmp_ne_u32_e32 vcc, 0, v132
	v_readlane_b32 s2, v177, 35
	v_and_b32_e32 v6, exec_hi, v6
	v_xor_b32_e32 v132, vcc_hi, v31
	v_readlane_b32 s3, v177, 36
	v_and_b32_e32 v6, v6, v132
	v_xor_b32_e32 v133, vcc_lo, v32
	v_cndmask_b32_e64 v132, 0, 1, s[2:3]
	v_cmp_ne_u32_e32 vcc, 0, v132
	v_readlane_b32 s2, v177, 37
	v_readlane_b32 s3, v177, 38
	v_xor_b32_e32 v132, vcc_hi, v33
	v_and_b32_e32 v129, exec_lo, v129
	v_and_b32_e32 v6, v6, v132
	v_cndmask_b32_e64 v132, 0, 1, s[2:3]
	v_and_b32_e32 v129, v129, v133
	v_xor_b32_e32 v133, vcc_lo, v34
	v_cmp_ne_u32_e32 vcc, 0, v132
	v_and_b32_e32 v129, v129, v133
	s_nop 0
	v_xor_b32_e32 v132, vcc_hi, v35
	v_and_b32_e32 v6, v6, v132
	v_cndmask_b32_e64 v132, 0, 1, s[34:35]
	v_xor_b32_e32 v133, vcc_lo, v36
	v_cmp_ne_u32_e32 vcc, 0, v132
	v_and_b32_e32 v129, v129, v133
	s_nop 0
	v_xor_b32_e32 v132, vcc_hi, v37
	v_and_b32_e32 v6, v6, v132
	v_cndmask_b32_e64 v132, 0, 1, s[36:37]
	;; [unrolled: 7-line block ×3, first 2 shown]
	v_xor_b32_e32 v133, vcc_lo, v40
	v_cmp_ne_u32_e32 vcc, 0, v132
	v_and_b32_e32 v129, v129, v133
	s_nop 0
	v_xor_b32_e32 v132, vcc_hi, v41
	v_xor_b32_e32 v133, vcc_lo, v42
	v_and_b32_e32 v6, v6, v132
	v_and_b32_e32 v132, v129, v133
	v_cndmask_b32_e64 v129, 0, 1, s[40:41]
	v_cmp_ne_u32_e32 vcc, 0, v129
	s_nop 1
	v_xor_b32_e32 v129, vcc_hi, v43
	v_xor_b32_e32 v133, vcc_lo, v44
	v_and_b32_e32 v129, v6, v129
	v_and_b32_e32 v6, v132, v133
	v_mbcnt_lo_u32_b32 v132, v6, 0
	v_mbcnt_hi_u32_b32 v132, v129, v132
	v_cmp_eq_u32_e32 vcc, 0, v132
	s_and_saveexec_b64 s[2:3], vcc
	s_cbranch_execz .LBB4_8
; %bb.7:                                ;   in Loop: Header=BB4_2 Depth=1
	v_bcnt_u32_b32 v6, v6, 0
	v_bcnt_u32_b32 v6, v129, v6
	ds_add_u32 v169, v6
.LBB4_8:                                ;   in Loop: Header=BB4_2 Depth=1
	s_or_b64 exec, exec, s[2:3]
	v_readlane_b32 s2, v177, 9
	v_readlane_b32 s3, v177, 10
	v_cndmask_b32_e64 v132, 0, 1, s[42:43]
	s_nop 0
	v_cndmask_b32_e64 v6, 0, 1, s[2:3]
	v_cmp_ne_u32_e32 vcc, 0, v6
	s_nop 1
	v_xor_b32_e32 v6, vcc_hi, v11
	v_xor_b32_e32 v129, vcc_lo, v10
	v_cmp_ne_u32_e32 vcc, 0, v132
	v_and_b32_e32 v6, exec_hi, v6
	v_and_b32_e32 v129, exec_lo, v129
	v_xor_b32_e32 v132, vcc_hi, v45
	v_and_b32_e32 v6, v6, v132
	v_cndmask_b32_e64 v132, 0, 1, s[44:45]
	v_xor_b32_e32 v133, vcc_lo, v46
	v_cmp_ne_u32_e32 vcc, 0, v132
	v_and_b32_e32 v129, v129, v133
	s_nop 0
	v_xor_b32_e32 v132, vcc_hi, v47
	v_and_b32_e32 v6, v6, v132
	v_cndmask_b32_e64 v132, 0, 1, s[46:47]
	v_xor_b32_e32 v133, vcc_lo, v48
	v_cmp_ne_u32_e32 vcc, 0, v132
	v_and_b32_e32 v129, v129, v133
	s_nop 0
	;; [unrolled: 7-line block ×5, first 2 shown]
	v_xor_b32_e32 v132, vcc_hi, v55
	v_xor_b32_e32 v133, vcc_lo, v56
	v_and_b32_e32 v6, v6, v132
	v_and_b32_e32 v132, v129, v133
	v_cndmask_b32_e64 v129, 0, 1, s[54:55]
	v_cmp_ne_u32_e32 vcc, 0, v129
	s_nop 1
	v_xor_b32_e32 v129, vcc_hi, v57
	v_xor_b32_e32 v133, vcc_lo, v58
	v_and_b32_e32 v129, v6, v129
	v_and_b32_e32 v6, v132, v133
	v_mbcnt_lo_u32_b32 v132, v6, 0
	v_mbcnt_hi_u32_b32 v132, v129, v132
	v_cmp_eq_u32_e32 vcc, 0, v132
	s_and_saveexec_b64 s[2:3], vcc
	s_cbranch_execz .LBB4_10
; %bb.9:                                ;   in Loop: Header=BB4_2 Depth=1
	v_bcnt_u32_b32 v6, v6, 0
	v_bcnt_u32_b32 v6, v129, v6
	ds_add_u32 v170, v6
.LBB4_10:                               ;   in Loop: Header=BB4_2 Depth=1
	s_or_b64 exec, exec, s[2:3]
	v_readlane_b32 s2, v177, 11
	v_readlane_b32 s3, v177, 12
	v_cndmask_b32_e64 v132, 0, 1, s[56:57]
	s_nop 0
	v_cndmask_b32_e64 v6, 0, 1, s[2:3]
	v_cmp_ne_u32_e32 vcc, 0, v6
	s_nop 1
	v_xor_b32_e32 v6, vcc_hi, v5
	v_xor_b32_e32 v129, vcc_lo, v4
	v_cmp_ne_u32_e32 vcc, 0, v132
	v_and_b32_e32 v6, exec_hi, v6
	v_and_b32_e32 v129, exec_lo, v129
	v_xor_b32_e32 v132, vcc_hi, v59
	v_and_b32_e32 v6, v6, v132
	v_cndmask_b32_e64 v132, 0, 1, s[58:59]
	v_xor_b32_e32 v133, vcc_lo, v60
	v_cmp_ne_u32_e32 vcc, 0, v132
	v_and_b32_e32 v129, v129, v133
	s_nop 0
	v_xor_b32_e32 v132, vcc_hi, v61
	v_and_b32_e32 v6, v6, v132
	v_cndmask_b32_e64 v132, 0, 1, s[60:61]
	v_xor_b32_e32 v133, vcc_lo, v62
	v_cmp_ne_u32_e32 vcc, 0, v132
	v_and_b32_e32 v129, v129, v133
	s_nop 0
	;; [unrolled: 7-line block ×5, first 2 shown]
	v_xor_b32_e32 v132, vcc_hi, v69
	v_xor_b32_e32 v133, vcc_lo, v70
	v_and_b32_e32 v6, v6, v132
	v_and_b32_e32 v132, v129, v133
	v_cndmask_b32_e64 v129, 0, 1, s[68:69]
	v_cmp_ne_u32_e32 vcc, 0, v129
	s_nop 1
	v_xor_b32_e32 v129, vcc_hi, v71
	v_xor_b32_e32 v133, vcc_lo, v72
	v_and_b32_e32 v129, v6, v129
	v_and_b32_e32 v6, v132, v133
	v_mbcnt_lo_u32_b32 v132, v6, 0
	v_mbcnt_hi_u32_b32 v132, v129, v132
	v_cmp_eq_u32_e32 vcc, 0, v132
	s_and_saveexec_b64 s[2:3], vcc
	s_cbranch_execz .LBB4_12
; %bb.11:                               ;   in Loop: Header=BB4_2 Depth=1
	v_bcnt_u32_b32 v6, v6, 0
	v_bcnt_u32_b32 v6, v129, v6
	ds_add_u32 v171, v6
.LBB4_12:                               ;   in Loop: Header=BB4_2 Depth=1
	s_or_b64 exec, exec, s[2:3]
	v_readlane_b32 s2, v177, 13
	v_readlane_b32 s3, v177, 14
	v_cndmask_b32_e64 v132, 0, 1, s[70:71]
	s_nop 0
	v_cndmask_b32_e64 v6, 0, 1, s[2:3]
	v_cmp_ne_u32_e32 vcc, 0, v6
	s_nop 1
	v_xor_b32_e32 v6, vcc_hi, v13
	v_xor_b32_e32 v129, vcc_lo, v12
	v_cmp_ne_u32_e32 vcc, 0, v132
	v_and_b32_e32 v6, exec_hi, v6
	v_and_b32_e32 v129, exec_lo, v129
	v_xor_b32_e32 v132, vcc_hi, v73
	v_and_b32_e32 v6, v6, v132
	v_cndmask_b32_e64 v132, 0, 1, s[72:73]
	v_xor_b32_e32 v133, vcc_lo, v74
	v_cmp_ne_u32_e32 vcc, 0, v132
	v_and_b32_e32 v129, v129, v133
	s_nop 0
	v_xor_b32_e32 v132, vcc_hi, v75
	v_and_b32_e32 v6, v6, v132
	v_cndmask_b32_e64 v132, 0, 1, s[74:75]
	v_xor_b32_e32 v133, vcc_lo, v76
	v_cmp_ne_u32_e32 vcc, 0, v132
	v_and_b32_e32 v129, v129, v133
	s_nop 0
	v_xor_b32_e32 v132, vcc_hi, v77
	v_and_b32_e32 v6, v6, v132
	v_cndmask_b32_e64 v132, 0, 1, s[76:77]
	v_xor_b32_e32 v133, vcc_lo, v78
	v_cmp_ne_u32_e32 vcc, 0, v132
	v_and_b32_e32 v129, v129, v133
	s_nop 0
	v_xor_b32_e32 v132, vcc_hi, v79
	v_and_b32_e32 v6, v6, v132
	v_cndmask_b32_e64 v132, 0, 1, s[78:79]
	v_xor_b32_e32 v133, vcc_lo, v80
	v_cmp_ne_u32_e32 vcc, 0, v132
	v_and_b32_e32 v129, v129, v133
	s_nop 0
	v_xor_b32_e32 v132, vcc_hi, v81
	v_and_b32_e32 v6, v6, v132
	v_cndmask_b32_e64 v132, 0, 1, s[82:83]
	v_xor_b32_e32 v133, vcc_lo, v82
	v_cmp_ne_u32_e32 vcc, 0, v132
	v_and_b32_e32 v129, v129, v133
	s_nop 0
	v_xor_b32_e32 v132, vcc_hi, v83
	v_xor_b32_e32 v133, vcc_lo, v84
	v_and_b32_e32 v6, v6, v132
	v_and_b32_e32 v132, v129, v133
	v_cndmask_b32_e64 v129, 0, 1, s[84:85]
	v_cmp_ne_u32_e32 vcc, 0, v129
	s_nop 1
	v_xor_b32_e32 v129, vcc_hi, v85
	v_xor_b32_e32 v133, vcc_lo, v86
	v_and_b32_e32 v129, v6, v129
	v_and_b32_e32 v6, v132, v133
	v_mbcnt_lo_u32_b32 v132, v6, 0
	v_mbcnt_hi_u32_b32 v132, v129, v132
	v_cmp_eq_u32_e32 vcc, 0, v132
	s_and_saveexec_b64 s[2:3], vcc
	s_cbranch_execz .LBB4_14
; %bb.13:                               ;   in Loop: Header=BB4_2 Depth=1
	v_bcnt_u32_b32 v6, v6, 0
	v_bcnt_u32_b32 v6, v129, v6
	ds_add_u32 v172, v6
.LBB4_14:                               ;   in Loop: Header=BB4_2 Depth=1
	s_or_b64 exec, exec, s[2:3]
	v_readlane_b32 s2, v177, 15
	v_readlane_b32 s3, v177, 16
	v_cndmask_b32_e64 v132, 0, 1, s[86:87]
	s_nop 0
	v_cndmask_b32_e64 v6, 0, 1, s[2:3]
	v_cmp_ne_u32_e32 vcc, 0, v6
	s_nop 1
	v_xor_b32_e32 v6, vcc_hi, v15
	v_xor_b32_e32 v129, vcc_lo, v14
	v_cmp_ne_u32_e32 vcc, 0, v132
	v_and_b32_e32 v6, exec_hi, v6
	v_and_b32_e32 v129, exec_lo, v129
	v_xor_b32_e32 v132, vcc_hi, v87
	v_and_b32_e32 v6, v6, v132
	v_cndmask_b32_e64 v132, 0, 1, s[88:89]
	v_xor_b32_e32 v133, vcc_lo, v88
	v_cmp_ne_u32_e32 vcc, 0, v132
	v_and_b32_e32 v129, v129, v133
	s_nop 0
	v_xor_b32_e32 v132, vcc_hi, v89
	v_and_b32_e32 v6, v6, v132
	v_cndmask_b32_e64 v132, 0, 1, s[90:91]
	v_xor_b32_e32 v133, vcc_lo, v90
	v_cmp_ne_u32_e32 vcc, 0, v132
	v_and_b32_e32 v129, v129, v133
	s_nop 0
	;; [unrolled: 7-line block ×5, first 2 shown]
	v_xor_b32_e32 v132, vcc_hi, v97
	v_xor_b32_e32 v133, vcc_lo, v98
	v_and_b32_e32 v6, v6, v132
	v_and_b32_e32 v132, v129, v133
	v_cndmask_b32_e64 v129, 0, 1, s[98:99]
	v_cmp_ne_u32_e32 vcc, 0, v129
	s_nop 1
	v_xor_b32_e32 v129, vcc_hi, v99
	v_xor_b32_e32 v133, vcc_lo, v100
	v_and_b32_e32 v129, v6, v129
	v_and_b32_e32 v6, v132, v133
	v_mbcnt_lo_u32_b32 v132, v6, 0
	v_mbcnt_hi_u32_b32 v132, v129, v132
	v_cmp_eq_u32_e32 vcc, 0, v132
	s_and_saveexec_b64 s[2:3], vcc
	s_cbranch_execz .LBB4_16
; %bb.15:                               ;   in Loop: Header=BB4_2 Depth=1
	v_bcnt_u32_b32 v6, v6, 0
	v_bcnt_u32_b32 v6, v129, v6
	ds_add_u32 v173, v6
.LBB4_16:                               ;   in Loop: Header=BB4_2 Depth=1
	s_or_b64 exec, exec, s[2:3]
	v_readlane_b32 s2, v177, 17
	v_readlane_b32 s3, v177, 18
	v_cndmask_b32_e64 v132, 0, 1, s[0:1]
	s_nop 0
	v_cndmask_b32_e64 v6, 0, 1, s[2:3]
	v_cmp_ne_u32_e32 vcc, 0, v6
	s_nop 1
	v_xor_b32_e32 v6, vcc_hi, v17
	v_xor_b32_e32 v129, vcc_lo, v16
	v_cmp_ne_u32_e32 vcc, 0, v132
	v_and_b32_e32 v6, exec_hi, v6
	v_and_b32_e32 v129, exec_lo, v129
	v_xor_b32_e32 v132, vcc_hi, v101
	v_and_b32_e32 v6, v6, v132
	v_cndmask_b32_e64 v132, 0, 1, s[28:29]
	v_xor_b32_e32 v133, vcc_lo, v102
	v_cmp_ne_u32_e32 vcc, 0, v132
	v_and_b32_e32 v129, v129, v133
	s_nop 0
	v_xor_b32_e32 v132, vcc_hi, v103
	v_and_b32_e32 v6, v6, v132
	v_cndmask_b32_e64 v132, 0, 1, s[4:5]
	v_xor_b32_e32 v133, vcc_lo, v104
	v_cmp_ne_u32_e32 vcc, 0, v132
	v_and_b32_e32 v129, v129, v133
	s_nop 0
	;; [unrolled: 7-line block ×5, first 2 shown]
	v_xor_b32_e32 v132, vcc_hi, v111
	v_xor_b32_e32 v133, vcc_lo, v112
	v_and_b32_e32 v6, v6, v132
	v_and_b32_e32 v132, v129, v133
	v_cndmask_b32_e64 v129, 0, 1, s[12:13]
	v_cmp_ne_u32_e32 vcc, 0, v129
	s_nop 1
	v_xor_b32_e32 v129, vcc_hi, v113
	v_xor_b32_e32 v133, vcc_lo, v114
	v_and_b32_e32 v129, v6, v129
	v_and_b32_e32 v6, v132, v133
	v_mbcnt_lo_u32_b32 v132, v6, 0
	v_mbcnt_hi_u32_b32 v132, v129, v132
	v_cmp_eq_u32_e32 vcc, 0, v132
	s_and_saveexec_b64 s[2:3], vcc
	s_cbranch_execz .LBB4_18
; %bb.17:                               ;   in Loop: Header=BB4_2 Depth=1
	v_bcnt_u32_b32 v6, v6, 0
	v_bcnt_u32_b32 v6, v129, v6
	ds_add_u32 v174, v6
.LBB4_18:                               ;   in Loop: Header=BB4_2 Depth=1
	s_or_b64 exec, exec, s[2:3]
	v_cndmask_b32_e64 v6, 0, 1, s[30:31]
	v_cmp_ne_u32_e32 vcc, 0, v6
	v_cndmask_b32_e64 v132, 0, 1, s[14:15]
	s_nop 0
	v_xor_b32_e32 v6, vcc_hi, v131
	v_xor_b32_e32 v129, vcc_lo, v130
	v_cmp_ne_u32_e32 vcc, 0, v132
	v_and_b32_e32 v6, exec_hi, v6
	v_and_b32_e32 v129, exec_lo, v129
	v_xor_b32_e32 v132, vcc_hi, v115
	v_and_b32_e32 v6, v6, v132
	v_cndmask_b32_e64 v132, 0, 1, s[16:17]
	v_xor_b32_e32 v133, vcc_lo, v116
	v_cmp_ne_u32_e32 vcc, 0, v132
	v_and_b32_e32 v129, v129, v133
	s_nop 0
	v_xor_b32_e32 v132, vcc_hi, v117
	v_and_b32_e32 v6, v6, v132
	v_cndmask_b32_e64 v132, 0, 1, s[18:19]
	v_xor_b32_e32 v133, vcc_lo, v118
	v_cmp_ne_u32_e32 vcc, 0, v132
	v_and_b32_e32 v129, v129, v133
	s_nop 0
	;; [unrolled: 7-line block ×5, first 2 shown]
	v_xor_b32_e32 v132, vcc_hi, v125
	v_xor_b32_e32 v133, vcc_lo, v126
	v_and_b32_e32 v6, v6, v132
	v_and_b32_e32 v132, v129, v133
	v_cndmask_b32_e64 v129, 0, 1, s[26:27]
	v_cmp_ne_u32_e32 vcc, 0, v129
	s_nop 1
	v_xor_b32_e32 v129, vcc_hi, v127
	v_xor_b32_e32 v133, vcc_lo, v128
	v_and_b32_e32 v129, v6, v129
	v_and_b32_e32 v6, v132, v133
	v_mbcnt_lo_u32_b32 v132, v6, 0
	v_mbcnt_hi_u32_b32 v132, v129, v132
	v_cmp_eq_u32_e32 vcc, 0, v132
	s_and_saveexec_b64 s[2:3], vcc
	s_cbranch_execz .LBB4_1
; %bb.19:                               ;   in Loop: Header=BB4_2 Depth=1
	v_bcnt_u32_b32 v6, v6, 0
	v_bcnt_u32_b32 v6, v129, v6
	ds_add_u32 v175, v6
	s_branch .LBB4_1
.LBB4_20:
	s_and_saveexec_b64 s[0:1], s[80:81]
	s_cbranch_execz .LBB4_22
; %bb.21:
	ds_read_b32 v4, v176
	v_readlane_b32 s0, v177, 0
	v_readlane_b32 s2, v177, 2
	;; [unrolled: 1-line block ×4, first 2 shown]
	v_mov_b32_e32 v2, s2
	v_mov_b32_e32 v3, s3
	v_lshl_or_b32 v0, s0, 8, v0
	v_mov_b32_e32 v1, 0
	v_lshl_add_u64 v[0:1], v[0:1], 2, v[2:3]
	v_readlane_b32 s1, v177, 1
	s_waitcnt lgkmcnt(0)
	global_store_dword v[0:1], v4, off
.LBB4_22:
	s_endpgm
	.section	.rodata,"a",@progbits
	.p2align	6, 0x0
	.amdhsa_kernel _Z6kernelI9histogramILN6hipcub23BlockHistogramAlgorithmE0EEiLj256ELj8ELj256ELj100EEvPKT0_PS4_
		.amdhsa_group_segment_fixed_size 1024
		.amdhsa_private_segment_fixed_size 0
		.amdhsa_kernarg_size 16
		.amdhsa_user_sgpr_count 2
		.amdhsa_user_sgpr_dispatch_ptr 0
		.amdhsa_user_sgpr_queue_ptr 0
		.amdhsa_user_sgpr_kernarg_segment_ptr 1
		.amdhsa_user_sgpr_dispatch_id 0
		.amdhsa_user_sgpr_kernarg_preload_length 0
		.amdhsa_user_sgpr_kernarg_preload_offset 0
		.amdhsa_user_sgpr_private_segment_size 0
		.amdhsa_uses_dynamic_stack 0
		.amdhsa_enable_private_segment 0
		.amdhsa_system_sgpr_workgroup_id_x 1
		.amdhsa_system_sgpr_workgroup_id_y 0
		.amdhsa_system_sgpr_workgroup_id_z 0
		.amdhsa_system_sgpr_workgroup_info 0
		.amdhsa_system_vgpr_workitem_id 0
		.amdhsa_next_free_vgpr 178
		.amdhsa_next_free_sgpr 100
		.amdhsa_accum_offset 180
		.amdhsa_reserve_vcc 1
		.amdhsa_float_round_mode_32 0
		.amdhsa_float_round_mode_16_64 0
		.amdhsa_float_denorm_mode_32 3
		.amdhsa_float_denorm_mode_16_64 3
		.amdhsa_dx10_clamp 1
		.amdhsa_ieee_mode 1
		.amdhsa_fp16_overflow 0
		.amdhsa_tg_split 0
		.amdhsa_exception_fp_ieee_invalid_op 0
		.amdhsa_exception_fp_denorm_src 0
		.amdhsa_exception_fp_ieee_div_zero 0
		.amdhsa_exception_fp_ieee_overflow 0
		.amdhsa_exception_fp_ieee_underflow 0
		.amdhsa_exception_fp_ieee_inexact 0
		.amdhsa_exception_int_div_zero 0
	.end_amdhsa_kernel
	.section	.text._Z6kernelI9histogramILN6hipcub23BlockHistogramAlgorithmE0EEiLj256ELj8ELj256ELj100EEvPKT0_PS4_,"axG",@progbits,_Z6kernelI9histogramILN6hipcub23BlockHistogramAlgorithmE0EEiLj256ELj8ELj256ELj100EEvPKT0_PS4_,comdat
.Lfunc_end4:
	.size	_Z6kernelI9histogramILN6hipcub23BlockHistogramAlgorithmE0EEiLj256ELj8ELj256ELj100EEvPKT0_PS4_, .Lfunc_end4-_Z6kernelI9histogramILN6hipcub23BlockHistogramAlgorithmE0EEiLj256ELj8ELj256ELj100EEvPKT0_PS4_
                                        ; -- End function
	.section	.AMDGPU.csdata,"",@progbits
; Kernel info:
; codeLenInByte = 5052
; NumSgprs: 106
; NumVgprs: 178
; NumAgprs: 0
; TotalNumVgprs: 178
; ScratchSize: 0
; MemoryBound: 0
; FloatMode: 240
; IeeeMode: 1
; LDSByteSize: 1024 bytes/workgroup (compile time only)
; SGPRBlocks: 13
; VGPRBlocks: 22
; NumSGPRsForWavesPerEU: 106
; NumVGPRsForWavesPerEU: 178
; AccumOffset: 180
; Occupancy: 2
; WaveLimiterHint : 0
; COMPUTE_PGM_RSRC2:SCRATCH_EN: 0
; COMPUTE_PGM_RSRC2:USER_SGPR: 2
; COMPUTE_PGM_RSRC2:TRAP_HANDLER: 0
; COMPUTE_PGM_RSRC2:TGID_X_EN: 1
; COMPUTE_PGM_RSRC2:TGID_Y_EN: 0
; COMPUTE_PGM_RSRC2:TGID_Z_EN: 0
; COMPUTE_PGM_RSRC2:TIDIG_COMP_CNT: 0
; COMPUTE_PGM_RSRC3_GFX90A:ACCUM_OFFSET: 44
; COMPUTE_PGM_RSRC3_GFX90A:TG_SPLIT: 0
	.section	.text._Z6kernelI9histogramILN6hipcub23BlockHistogramAlgorithmE0EEiLj256ELj16ELj256ELj100EEvPKT0_PS4_,"axG",@progbits,_Z6kernelI9histogramILN6hipcub23BlockHistogramAlgorithmE0EEiLj256ELj16ELj256ELj100EEvPKT0_PS4_,comdat
	.protected	_Z6kernelI9histogramILN6hipcub23BlockHistogramAlgorithmE0EEiLj256ELj16ELj256ELj100EEvPKT0_PS4_ ; -- Begin function _Z6kernelI9histogramILN6hipcub23BlockHistogramAlgorithmE0EEiLj256ELj16ELj256ELj100EEvPKT0_PS4_
	.globl	_Z6kernelI9histogramILN6hipcub23BlockHistogramAlgorithmE0EEiLj256ELj16ELj256ELj100EEvPKT0_PS4_
	.p2align	8
	.type	_Z6kernelI9histogramILN6hipcub23BlockHistogramAlgorithmE0EEiLj256ELj16ELj256ELj100EEvPKT0_PS4_,@function
_Z6kernelI9histogramILN6hipcub23BlockHistogramAlgorithmE0EEiLj256ELj16ELj256ELj100EEvPKT0_PS4_: ; @_Z6kernelI9histogramILN6hipcub23BlockHistogramAlgorithmE0EEiLj256ELj16ELj256ELj100EEvPKT0_PS4_
; %bb.0:
	s_load_dwordx4 s[4:7], s[0:1], 0x0
	v_lshlrev_b32_e32 v2, 4, v0
                                        ; implicit-def: $vgpr253 : SGPR spill to VGPR lane
	v_mov_b32_e32 v252, v0
	v_lshl_or_b32 v18, s2, 12, v2
	v_mov_b32_e32 v19, 0
	s_waitcnt lgkmcnt(0)
	v_mov_b32_e32 v0, s4
	v_writelane_b32 v253, s4, 0
	v_mov_b32_e32 v250, v19
	v_mov_b32_e32 v248, v19
	;; [unrolled: 1-line block ×3, first 2 shown]
	v_lshl_add_u64 v[20:21], v[18:19], 2, v[0:1]
	global_load_dwordx4 v[2:5], v[20:21], off
	global_load_dwordx4 v[6:9], v[20:21], off offset:16
	global_load_dwordx4 v[14:17], v[20:21], off offset:32
	;; [unrolled: 1-line block ×3, first 2 shown]
	v_writelane_b32 v253, s5, 1
	v_writelane_b32 v253, s6, 2
	;; [unrolled: 1-line block ×4, first 2 shown]
	v_mov_b32_e32 v246, v19
	v_mov_b32_e32 v244, v19
	;; [unrolled: 1-line block ×12, first 2 shown]
                                        ; implicit-def: $vgpr254 : SGPR spill to VGPR lane
	v_mov_b32_e32 v222, v19
	v_mov_b32_e32 v220, v19
	;; [unrolled: 1-line block ×33, first 2 shown]
                                        ; implicit-def: $vgpr255 : SGPR spill to VGPR lane
	v_mov_b32_e32 v70, v19
	v_mov_b32_e32 v72, v19
	;; [unrolled: 1-line block ×27, first 2 shown]
	s_waitcnt vmcnt(3)
	v_and_b32_e32 v18, 1, v2
	v_cmp_eq_u32_e64 s[0:1], 1, v18
	v_lshl_add_u64 v[20:21], v[18:19], 0, -1
	v_and_b32_e32 v18, 1, v3
	v_writelane_b32 v253, s0, 5
	v_lshlrev_b32_e32 v0, 2, v2
	v_lshlrev_b32_e32 v1, 30, v2
	v_writelane_b32 v253, s1, 6
	v_cmp_eq_u32_e64 s[0:1], 1, v18
	v_lshlrev_b32_e32 v251, 29, v2
	v_lshlrev_b32_e32 v249, 28, v2
	;; [unrolled: 1-line block ×6, first 2 shown]
	v_accvgpr_write_b32 a23, v0
	v_lshlrev_b32_e32 v239, 30, v3
	v_lshlrev_b32_e32 v237, 29, v3
	v_lshlrev_b32_e32 v235, 28, v3
	v_lshlrev_b32_e32 v233, 27, v3
	v_lshlrev_b32_e32 v231, 26, v3
	v_lshlrev_b32_e32 v229, 25, v3
	v_lshlrev_b32_e32 v227, 24, v3
	v_lshlrev_b32_e32 v0, 2, v3
	v_lshl_add_u64 v[2:3], v[18:19], 0, -1
	v_writelane_b32 v253, s0, 7
	v_and_b32_e32 v18, 1, v4
	v_accvgpr_write_b32 a11, v3
	v_writelane_b32 v253, s1, 8
	v_cmp_eq_u32_e64 s[0:1], 1, v18
	v_accvgpr_write_b32 a10, v2
	v_lshl_add_u64 v[2:3], v[18:19], 0, -1
	v_writelane_b32 v253, s0, 9
	v_and_b32_e32 v18, 1, v5
	v_accvgpr_write_b32 a13, v3
	v_writelane_b32 v253, s1, 10
	v_cmp_eq_u32_e64 s[0:1], 1, v18
	v_accvgpr_write_b32 a12, v2
	v_lshl_add_u64 v[2:3], v[18:19], 0, -1
	v_writelane_b32 v253, s0, 11
	s_waitcnt vmcnt(2)
	v_and_b32_e32 v18, 1, v6
	v_accvgpr_write_b32 a0, v0
	v_lshlrev_b32_e32 v0, 2, v4
	v_writelane_b32 v253, s1, 12
	v_cmp_eq_u32_e64 s[0:1], 1, v18
	v_accvgpr_write_b32 a1, v0
	v_lshlrev_b32_e32 v0, 2, v5
	v_writelane_b32 v253, s0, 13
	v_lshl_add_u64 v[24:25], v[18:19], 0, -1
	v_and_b32_e32 v18, 1, v7
	v_accvgpr_write_b32 a2, v0
	v_lshlrev_b32_e32 v0, 2, v6
	v_writelane_b32 v253, s1, 14
	v_cmp_eq_u32_e64 s[0:1], 1, v18
	v_accvgpr_write_b32 a3, v0
	v_lshlrev_b32_e32 v0, 2, v7
	v_lshlrev_b32_e32 v177, 30, v6
	;; [unrolled: 1-line block ×15, first 2 shown]
	v_writelane_b32 v253, s0, 15
	v_lshl_add_u64 v[6:7], v[18:19], 0, -1
	v_and_b32_e32 v18, 1, v8
	v_writelane_b32 v253, s1, 16
	v_cmp_eq_u32_e64 s[0:1], 1, v18
	v_lshl_add_u64 v[26:27], v[18:19], 0, -1
	v_and_b32_e32 v18, 1, v9
	v_writelane_b32 v253, s0, 17
	v_accvgpr_write_b32 a4, v0
	v_lshlrev_b32_e32 v0, 2, v8
	v_writelane_b32 v253, s1, 18
	v_cmp_eq_u32_e64 s[0:1], 1, v18
	v_accvgpr_write_b32 a5, v0
	v_lshlrev_b32_e32 v0, 2, v9
	v_lshlrev_b32_e32 v59, 30, v8
	;; [unrolled: 1-line block ×15, first 2 shown]
	v_writelane_b32 v253, s0, 19
	v_lshl_add_u64 v[8:9], v[18:19], 0, -1
	s_waitcnt vmcnt(1)
	v_and_b32_e32 v18, 1, v14
	v_writelane_b32 v253, s1, 20
	v_cmp_eq_u32_e64 s[0:1], 1, v18
	v_lshl_add_u64 v[28:29], v[18:19], 0, -1
	v_and_b32_e32 v18, 1, v15
	v_writelane_b32 v253, s0, 21
	v_lshl_add_u64 v[30:31], v[18:19], 0, -1
	v_accvgpr_write_b32 a6, v0
	v_writelane_b32 v253, s1, 22
	v_cmp_eq_u32_e64 s[0:1], 1, v18
	v_and_b32_e32 v18, 1, v16
	v_lshl_add_u64 v[32:33], v[18:19], 0, -1
	v_writelane_b32 v253, s0, 23
	v_lshlrev_b32_e32 v0, 2, v14
	v_accvgpr_write_b32 a7, v0
	v_writelane_b32 v253, s1, 24
	v_cmp_eq_u32_e64 s[0:1], 1, v18
	v_and_b32_e32 v18, 1, v17
	v_lshlrev_b32_e32 v0, 2, v15
	v_writelane_b32 v253, s0, 25
	v_accvgpr_write_b32 a16, v0
	v_lshlrev_b32_e32 v0, 2, v16
	v_writelane_b32 v253, s1, 26
	v_cmp_eq_u32_e64 s[0:1], 1, v18
	v_lshlrev_b32_e32 v87, 30, v14
	v_lshlrev_b32_e32 v89, 29, v14
	;; [unrolled: 1-line block ×14, first 2 shown]
	v_writelane_b32 v253, s0, 27
	v_lshl_add_u64 v[14:15], v[18:19], 0, -1
	s_waitcnt vmcnt(0)
	v_and_b32_e32 v18, 1, v10
	v_accvgpr_write_b32 a8, v20
	v_accvgpr_write_b32 a15, v3
	;; [unrolled: 1-line block ×3, first 2 shown]
	v_lshlrev_b32_e32 v0, 2, v17
	v_writelane_b32 v253, s1, 28
	v_cmp_eq_u32_e64 s[0:1], 1, v18
	v_accvgpr_write_b32 a9, v21
	v_accvgpr_write_b32 a14, v2
	;; [unrolled: 1-line block ×3, first 2 shown]
	v_lshlrev_b32_e32 v115, 30, v16
	v_lshlrev_b32_e32 v117, 29, v16
	;; [unrolled: 1-line block ×14, first 2 shown]
	v_writelane_b32 v253, s0, 29
	v_lshl_add_u64 v[16:17], v[18:19], 0, -1
	v_and_b32_e32 v18, 1, v11
	v_lshlrev_b32_e32 v0, 2, v10
	v_writelane_b32 v253, s1, 30
	v_cmp_eq_u32_e64 s[0:1], 1, v18
	v_accvgpr_write_b32 a19, v0
	v_lshlrev_b32_e32 v0, 2, v11
	v_writelane_b32 v253, s0, 31
	v_lshl_add_u64 v[34:35], v[18:19], 0, -1
	v_and_b32_e32 v18, 1, v12
	v_accvgpr_write_b32 a20, v0
	v_lshlrev_b32_e32 v0, 2, v12
	v_writelane_b32 v253, s1, 32
	v_cmp_eq_u32_e64 s[0:1], 1, v18
	v_accvgpr_write_b32 a21, v0
	v_lshlrev_b32_e32 v0, 2, v13
	v_writelane_b32 v253, s0, 33
	v_accvgpr_write_b32 a22, v0
	v_mov_b32_e32 v0, v19
	v_writelane_b32 v253, s1, 34
	v_cmp_gt_i64_e64 s[0:1], 0, v[0:1]
	v_lshlrev_b32_e32 v225, 30, v4
	v_lshlrev_b32_e32 v223, 29, v4
	v_writelane_b32 v253, s0, 35
	v_lshlrev_b32_e32 v221, 28, v4
	v_lshlrev_b32_e32 v219, 27, v4
	v_writelane_b32 v253, s1, 36
	v_cmp_gt_i64_e64 s[0:1], 0, v[250:251]
	v_lshlrev_b32_e32 v217, 26, v4
	v_lshlrev_b32_e32 v215, 25, v4
	v_writelane_b32 v253, s0, 37
	v_lshlrev_b32_e32 v213, 24, v4
	v_lshlrev_b32_e32 v211, 30, v5
	;; [unrolled: 7-line block ×3, first 2 shown]
	v_writelane_b32 v253, s1, 40
	v_cmp_gt_i64_e64 s[0:1], 0, v[246:247]
	v_lshlrev_b32_e32 v189, 25, v5
	v_lshlrev_b32_e32 v183, 24, v5
	v_writelane_b32 v253, s0, 41
	v_not_b32_e32 v0, v1
	v_not_b32_e32 v1, v251
	v_writelane_b32 v253, s1, 42
	v_cmp_gt_i64_e64 s[0:1], 0, v[244:245]
	v_ashrrev_i32_e32 v0, 31, v0
	v_lshl_add_u64 v[36:37], v[18:19], 0, -1
	v_writelane_b32 v253, s0, 43
	v_and_b32_e32 v18, 1, v13
	v_lshlrev_b32_e32 v143, 30, v10
	v_writelane_b32 v253, s1, 44
	v_cmp_gt_i64_e64 s[0:1], 0, v[242:243]
	v_lshlrev_b32_e32 v145, 29, v10
	v_lshlrev_b32_e32 v147, 28, v10
	v_writelane_b32 v253, s0, 45
	v_lshlrev_b32_e32 v149, 27, v10
	v_lshlrev_b32_e32 v151, 26, v10
	v_writelane_b32 v253, s1, 46
	v_cmp_gt_i64_e64 s[0:1], 0, v[240:241]
	v_lshlrev_b32_e32 v153, 25, v10
	v_lshlrev_b32_e32 v155, 24, v10
	v_writelane_b32 v253, s0, 47
	v_lshlrev_b32_e32 v157, 30, v11
	v_lshlrev_b32_e32 v159, 29, v11
	v_writelane_b32 v253, s1, 48
	v_cmp_gt_i64_e64 s[0:1], 0, v[238:239]
	v_lshlrev_b32_e32 v161, 28, v11
	v_lshlrev_b32_e32 v163, 27, v11
	v_writelane_b32 v253, s0, 49
	v_lshlrev_b32_e32 v165, 26, v11
	v_lshlrev_b32_e32 v167, 25, v11
	v_writelane_b32 v253, s1, 50
	v_cmp_gt_i64_e64 s[0:1], 0, v[236:237]
	v_lshlrev_b32_e32 v169, 24, v11
	v_lshlrev_b32_e32 v171, 30, v12
	v_writelane_b32 v253, s0, 51
	v_lshlrev_b32_e32 v173, 29, v12
	v_lshlrev_b32_e32 v175, 28, v12
	v_writelane_b32 v253, s1, 52
	v_cmp_gt_i64_e64 s[0:1], 0, v[234:235]
	v_lshlrev_b32_e32 v179, 27, v12
	v_lshlrev_b32_e32 v181, 26, v12
	v_writelane_b32 v253, s0, 53
	v_lshlrev_b32_e32 v185, 25, v12
	v_lshlrev_b32_e32 v187, 24, v12
	v_writelane_b32 v253, s1, 54
	v_cmp_gt_i64_e64 s[0:1], 0, v[232:233]
	v_lshlrev_b32_e32 v191, 30, v13
	v_lshlrev_b32_e32 v193, 29, v13
	v_writelane_b32 v253, s0, 55
	v_lshlrev_b32_e32 v197, 28, v13
	v_lshlrev_b32_e32 v199, 27, v13
	v_writelane_b32 v253, s1, 56
	v_cmp_gt_i64_e64 s[0:1], 0, v[230:231]
	v_lshlrev_b32_e32 v203, 26, v13
	v_lshlrev_b32_e32 v207, 25, v13
	v_writelane_b32 v253, s0, 57
	v_lshlrev_b32_e32 v11, 24, v13
	v_not_b32_e32 v5, v249
	v_writelane_b32 v253, s1, 58
	v_cmp_gt_i64_e64 s[0:1], 0, v[228:229]
	v_not_b32_e32 v10, v247
	v_not_b32_e32 v12, v245
	v_writelane_b32 v253, s0, 59
	v_not_b32_e32 v13, v243
	v_accvgpr_write_b32 a24, v0
	v_writelane_b32 v253, s1, 60
	v_cmp_gt_i64_e64 s[0:1], 0, v[226:227]
	v_not_b32_e32 v0, v51
	v_ashrrev_i32_e32 v244, 31, v1
	v_writelane_b32 v253, s0, 61
	v_not_b32_e32 v1, v53
	v_not_b32_e32 v202, v241
	v_writelane_b32 v253, s1, 62
	v_cmp_gt_i64_e64 s[0:1], 0, v[224:225]
	v_not_b32_e32 v206, v239
	v_mov_b32_e32 v128, v19
	v_writelane_b32 v253, s0, 63
	v_mov_b32_e32 v130, v19
	v_mov_b32_e32 v132, v19
	v_writelane_b32 v254, s1, 0
	v_cmp_gt_i64_e64 s[0:1], 0, v[222:223]
	v_mov_b32_e32 v134, v19
	v_mov_b32_e32 v22, v19
	v_writelane_b32 v254, s0, 1
	v_mov_b32_e32 v20, v19
	v_mov_b32_e32 v2, v19
	v_writelane_b32 v254, s1, 2
	v_cmp_gt_i64_e64 s[0:1], 0, v[220:221]
	v_mov_b32_e32 v142, v19
	;; [unrolled: 7-line block ×5, first 2 shown]
	v_cmp_gt_i64_e64 s[68:69], 0, v[110:111]
	v_writelane_b32 v254, s0, 9
	v_ashrrev_i32_e32 v110, 31, v0
	v_not_b32_e32 v0, v127
	v_writelane_b32 v254, s1, 10
	v_cmp_gt_i64_e64 s[0:1], 0, v[212:213]
	v_cmp_gt_i64_e64 s[70:71], 0, v[112:113]
	v_ashrrev_i32_e32 v112, 31, v1
	v_writelane_b32 v254, s0, 11
	v_not_b32_e32 v1, v129
	v_not_b32_e32 v236, v237
	v_writelane_b32 v254, s1, 12
	v_cmp_gt_i64_e64 s[0:1], 0, v[210:211]
	v_not_b32_e32 v234, v235
	v_not_b32_e32 v232, v233
	v_writelane_b32 v254, s0, 13
	v_not_b32_e32 v230, v231
	v_not_b32_e32 v228, v229
	v_writelane_b32 v254, s1, 14
	v_cmp_gt_i64_e64 s[0:1], 0, v[208:209]
	v_not_b32_e32 v208, v209
	v_not_b32_e32 v209, v49
	;; [unrolled: 7-line block ×6, first 2 shown]
	v_writelane_b32 v254, s0, 23
	v_not_b32_e32 v210, v211
	v_mov_b32_e32 v106, v19
	v_writelane_b32 v254, s1, 24
	v_cmp_gt_i64_e64 s[0:1], 0, v[182:183]
	v_not_b32_e32 v182, v183
	v_not_b32_e32 v183, v39
	v_writelane_b32 v254, s0, 25
	v_mov_b32_e32 v108, v19
	v_mov_b32_e32 v166, v19
	v_writelane_b32 v254, s1, 26
	v_cmp_gt_i64_e64 s[0:1], 0, v[176:177]
	v_not_b32_e32 v176, v177
	v_not_b32_e32 v177, v137
	v_writelane_b32 v254, s0, 27
	v_mov_b32_e32 v168, v19
	;; [unrolled: 7-line block ×3, first 2 shown]
	v_mov_b32_e32 v174, v19
	v_writelane_b32 v254, s1, 30
	v_cmp_gt_i64_e64 s[0:1], 0, v[138:139]
	v_mov_b32_e32 v178, v19
	v_mov_b32_e32 v180, v19
	v_writelane_b32 v254, s0, 31
	v_mov_b32_e32 v184, v19
	v_mov_b32_e32 v190, v19
	v_writelane_b32 v254, s1, 32
	v_cmp_gt_i64_e64 s[0:1], 0, v[136:137]
	v_mov_b32_e32 v192, v19
	v_mov_b32_e32 v196, v19
	v_writelane_b32 v254, s0, 33
	v_mov_b32_e32 v198, v19
	v_mov_b32_e32 v4, v252
	v_writelane_b32 v254, s1, 34
	v_cmp_gt_i64_e64 s[0:1], 0, v[38:39]
	v_ashrrev_i32_e32 v38, 31, v5
	v_not_b32_e32 v5, v55
	v_writelane_b32 v254, s0, 35
	v_not_b32_e32 v39, v63
	v_cmp_gt_i64_e64 s[72:73], 0, v[114:115]
	v_writelane_b32 v254, s1, 36
	v_cmp_gt_i64_e64 s[0:1], 0, v[40:41]
	v_ashrrev_i32_e32 v40, 31, v10
	v_not_b32_e32 v10, v57
	v_writelane_b32 v254, s0, 37
	v_not_b32_e32 v41, v65
	v_ashrrev_i32_e32 v114, 31, v5
	v_writelane_b32 v254, s1, 38
	v_cmp_gt_i64_e64 s[0:1], 0, v[42:43]
	v_ashrrev_i32_e32 v42, 31, v12
	v_not_b32_e32 v12, v59
	v_writelane_b32 v254, s0, 39
	v_not_b32_e32 v43, v67
	v_not_b32_e32 v5, v131
	v_writelane_b32 v254, s1, 40
	v_cmp_gt_i64_e64 s[0:1], 0, v[44:45]
	v_ashrrev_i32_e32 v44, 31, v13
	v_not_b32_e32 v13, v61
	v_writelane_b32 v254, s0, 41
	v_not_b32_e32 v45, v69
	v_cmp_gt_i64_e64 s[74:75], 0, v[116:117]
	v_writelane_b32 v254, s1, 42
	v_cmp_gt_i64_e64 s[0:1], 0, v[46:47]
	v_not_b32_e32 v47, v71
	v_ashrrev_i32_e32 v46, 31, v202
	v_writelane_b32 v254, s0, 43
	v_ashrrev_i32_e32 v116, 31, v10
	v_cmp_gt_i64_e64 s[76:77], 0, v[118:119]
	v_writelane_b32 v254, s1, 44
	v_cmp_gt_i64_e64 s[0:1], 0, v[48:49]
	v_not_b32_e32 v49, v73
	v_ashrrev_i32_e32 v48, 31, v206
	v_writelane_b32 v254, s0, 45
	v_ashrrev_i32_e32 v118, 31, v12
	v_not_b32_e32 v12, v135
	v_writelane_b32 v254, s1, 46
	v_cmp_gt_i64_e64 s[0:1], 0, v[50:51]
	v_not_b32_e32 v51, v75
	v_cmp_gt_i64_e64 s[78:79], 0, v[120:121]
	v_writelane_b32 v254, s0, 47
	v_ashrrev_i32_e32 v120, 31, v13
	v_not_b32_e32 v13, v23
	v_writelane_b32 v254, s1, 48
	v_cmp_gt_i64_e64 s[0:1], 0, v[52:53]
	v_not_b32_e32 v53, v77
	v_cmp_gt_i64_e64 s[80:81], 0, v[122:123]
	;; [unrolled: 7-line block ×11, first 2 shown]
	v_writelane_b32 v255, s0, 3
	v_not_b32_e32 v2, v157
	v_not_b32_e32 v3, v159
	v_writelane_b32 v255, s1, 4
	v_cmp_gt_i64_e64 s[0:1], 0, v[72:73]
	v_not_b32_e32 v73, v97
	v_cmp_gt_i64_e64 s[60:61], 0, v[144:145]
	v_writelane_b32 v255, s0, 5
	v_ashrrev_i32_e32 v144, 31, v61
	v_not_b32_e32 v21, v161
	v_writelane_b32 v255, s1, 6
	v_cmp_gt_i64_e64 s[0:1], 0, v[74:75]
	v_not_b32_e32 v75, v99
	v_cmp_gt_i64_e64 s[4:5], 0, v[146:147]
	v_writelane_b32 v255, s0, 7
	v_ashrrev_i32_e32 v146, 31, v63
	;; [unrolled: 7-line block ×5, first 2 shown]
	v_cmp_gt_i64_e64 s[12:13], 0, v[154:155]
	v_writelane_b32 v255, s1, 14
	v_cmp_gt_i64_e64 s[0:1], 0, v[82:83]
	v_not_b32_e32 v83, v107
	v_ashrrev_i32_e32 v154, 31, v71
	v_writelane_b32 v255, s0, 15
	v_cmp_gt_i64_e64 s[14:15], 0, v[156:157]
	v_ashrrev_i32_e32 v156, 31, v73
	v_writelane_b32 v255, s1, 16
	v_cmp_gt_i64_e64 s[0:1], 0, v[84:85]
	v_not_b32_e32 v85, v109
	v_not_b32_e32 v61, v173
	v_writelane_b32 v255, s0, 17
	v_cmp_gt_i64_e64 s[16:17], 0, v[158:159]
	v_ashrrev_i32_e32 v158, 31, v75
	v_writelane_b32 v255, s1, 18
	v_cmp_gt_i64_e64 s[0:1], 0, v[86:87]
	v_ashrrev_i32_e32 v86, 31, v188
	v_not_b32_e32 v87, v111
	v_writelane_b32 v255, s0, 19
	v_not_b32_e32 v63, v175
	v_cmp_gt_i64_e64 s[18:19], 0, v[160:161]
	v_writelane_b32 v255, s1, 20
	v_cmp_gt_i64_e64 s[0:1], 0, v[88:89]
	v_not_b32_e32 v89, v113
	v_ashrrev_i32_e32 v160, 31, v77
	v_writelane_b32 v255, s0, 21
	v_not_b32_e32 v65, v179
	v_cmp_gt_i64_e64 s[20:21], 0, v[162:163]
	v_writelane_b32 v255, s1, 22
	v_cmp_gt_i64_e64 s[0:1], 0, v[90:91]
	v_not_b32_e32 v91, v115
	v_ashrrev_i32_e32 v162, 31, v79
	v_writelane_b32 v255, s0, 23
	v_not_b32_e32 v67, v181
	v_cmp_gt_i64_e64 s[22:23], 0, v[164:165]
	v_writelane_b32 v255, s1, 24
	v_cmp_gt_i64_e64 s[0:1], 0, v[92:93]
	v_ashrrev_i32_e32 v92, 31, v140
	v_not_b32_e32 v93, v117
	v_writelane_b32 v255, s0, 25
	v_ashrrev_i32_e32 v140, 31, v57
	v_not_b32_e32 v57, v169
	v_writelane_b32 v255, s1, 26
	v_cmp_gt_i64_e64 s[0:1], 0, v[94:95]
	v_not_b32_e32 v95, v119
	v_ashrrev_i32_e32 v164, 31, v81
	v_writelane_b32 v255, s0, 27
	v_not_b32_e32 v69, v185
	v_not_b32_e32 v71, v187
	v_writelane_b32 v255, s1, 28
	v_cmp_gt_i64_e64 s[0:1], 0, v[96:97]
	v_not_b32_e32 v97, v121
	v_not_b32_e32 v73, v191
	v_writelane_b32 v255, s0, 29
	v_not_b32_e32 v75, v193
	v_not_b32_e32 v77, v197
	v_writelane_b32 v255, s1, 30
	v_cmp_gt_i64_e64 s[0:1], 0, v[98:99]
	v_not_b32_e32 v99, v123
	v_not_b32_e32 v79, v199
	v_writelane_b32 v255, s0, 31
	v_mov_b32_e32 v202, v19
	v_not_b32_e32 v81, v203
	v_writelane_b32 v255, s1, 32
	v_cmp_gt_i64_e64 s[0:1], 0, v[100:101]
	v_not_b32_e32 v101, v125
	v_mov_b32_e32 v206, v19
	v_writelane_b32 v255, s0, 33
	v_cmp_gt_i64_e64 s[42:43], 0, v[186:187]
	v_ashrrev_i32_e32 v186, 31, v0
	v_writelane_b32 v255, s1, 34
	v_cmp_gt_i64_e64 s[0:1], 0, v[102:103]
	v_not_b32_e32 v103, v133
	v_ashrrev_i32_e32 v188, 31, v1
	v_writelane_b32 v255, s0, 35
	v_not_b32_e32 v0, v207
	v_mov_b32_e32 v10, v19
	v_writelane_b32 v255, s1, 36
	v_cmp_gt_i64_e64 s[0:1], 0, v[104:105]
	v_not_b32_e32 v1, v11
	v_ashrrev_i32_e32 v50, 31, v236
	v_writelane_b32 v255, s0, 37
	v_ashrrev_i32_e32 v52, 31, v234
	v_ashrrev_i32_e32 v54, 31, v232
	v_writelane_b32 v255, s1, 38
	v_cmp_gt_i64_e64 s[0:1], 0, v[142:143]
	v_ashrrev_i32_e32 v142, 31, v59
	v_not_b32_e32 v59, v171
	v_ashrrev_i32_e32 v56, 31, v230
	v_ashrrev_i32_e32 v58, 31, v228
	;; [unrolled: 1-line block ×23, first 2 shown]
	v_cmp_gt_i64_e64 s[64:65], 0, v[106:107]
	v_ashrrev_i32_e32 v106, 31, v205
	v_cmp_gt_i64_e64 s[66:67], 0, v[108:109]
	v_ashrrev_i32_e32 v108, 31, v209
	;; [unrolled: 2-line block ×7, first 2 shown]
	v_ashrrev_i32_e32 v176, 31, v93
	v_cmp_gt_i64_e64 s[36:37], 0, v[178:179]
	v_ashrrev_i32_e32 v178, 31, v95
	v_cmp_gt_i64_e64 s[38:39], 0, v[180:181]
	v_ashrrev_i32_e32 v180, 31, v97
	v_ashrrev_i32_e32 v182, 31, v99
	v_cmp_gt_i64_e64 s[40:41], 0, v[184:185]
	v_ashrrev_i32_e32 v184, 31, v101
	v_cmp_gt_i64_e64 s[44:45], 0, v[190:191]
	v_ashrrev_i32_e32 v190, 31, v5
	v_cmp_gt_i64_e64 s[46:47], 0, v[192:193]
	v_ashrrev_i32_e32 v192, 31, v103
	v_ashrrev_i32_e32 v194, 31, v12
	v_cmp_gt_i64_e64 s[48:49], 0, v[196:197]
	v_ashrrev_i32_e32 v196, 31, v13
	v_cmp_gt_i64_e64 s[50:51], 0, v[198:199]
	v_ashrrev_i32_e32 v198, 31, v39
	v_ashrrev_i32_e32 v200, 31, v41
	v_cmp_gt_i64_e64 s[52:53], 0, v[202:203]
	v_ashrrev_i32_e32 v202, 31, v43
	;; [unrolled: 3-line block ×4, first 2 shown]
	v_ashrrev_i32_e32 v212, 31, v22
	v_mov_b32_e32 v22, v4
	s_movk_i32 s2, 0x100
	v_ashrrev_i32_e32 v214, 31, v20
	v_ashrrev_i32_e32 v216, 31, v2
	;; [unrolled: 1-line block ×22, first 2 shown]
	v_lshlrev_b32_e32 v252, 2, v4
	v_cmp_gt_u32_e64 s[62:63], s2, v22
	s_movk_i32 s33, 0x64
	v_cmp_eq_u32_e64 s[58:59], 1, v18
	v_accvgpr_read_b32 v20, a23
	v_accvgpr_read_b32 v11, a24
	v_accvgpr_write_b32 a26, v244
	v_mov_b32_e32 v13, v244
	v_mov_b32_e32 v39, v38
	;; [unrolled: 1-line block ×104, first 2 shown]
	v_lshl_add_u64 v[244:245], v[18:19], 0, -1
	v_accvgpr_write_b32 a28, v2
	v_mov_b32_e32 v247, v2
	v_mov_b32_e32 v249, v246
	;; [unrolled: 1-line block ×5, first 2 shown]
	v_accvgpr_write_b32 a30, v0
	v_mov_b32_e32 v3, v0
	v_mov_b32_e32 v23, v12
	s_branch .LBB5_2
.LBB5_1:                                ;   in Loop: Header=BB5_2 Depth=1
	s_or_b64 exec, exec, s[2:3]
	s_add_i32 s33, s33, -1
	s_cmp_eq_u32 s33, 0
	s_waitcnt lgkmcnt(0)
	s_barrier
	s_cbranch_scc1 .LBB5_36
.LBB5_2:                                ; =>This Inner Loop Header: Depth=1
	s_and_saveexec_b64 s[2:3], s[62:63]
	s_cbranch_execz .LBB5_4
; %bb.3:                                ;   in Loop: Header=BB5_2 Depth=1
	ds_write_b32 v252, v19
.LBB5_4:                                ;   in Loop: Header=BB5_2 Depth=1
	s_or_b64 exec, exec, s[2:3]
	v_readlane_b32 s2, v253, 5
	v_readlane_b32 s3, v253, 6
	v_accvgpr_read_b32 v4, a8
	v_accvgpr_read_b32 v5, a9
	v_cndmask_b32_e64 v0, 0, 1, s[2:3]
	v_readlane_b32 s2, v253, 35
	v_cmp_ne_u32_e32 vcc, 0, v0
	v_readlane_b32 s3, v253, 36
	s_waitcnt lgkmcnt(0)
	v_xor_b32_e32 v0, vcc_hi, v5
	v_cndmask_b32_e64 v5, 0, 1, s[2:3]
	v_xor_b32_e32 v2, vcc_lo, v4
	v_cmp_ne_u32_e32 vcc, 0, v5
	v_readlane_b32 s2, v253, 37
	v_and_b32_e32 v0, exec_hi, v0
	v_xor_b32_e32 v5, vcc_hi, v11
	v_readlane_b32 s3, v253, 38
	v_accvgpr_read_b32 v4, a24
	v_and_b32_e32 v0, v0, v5
	v_cndmask_b32_e64 v5, 0, 1, s[2:3]
	v_xor_b32_e32 v18, vcc_lo, v4
	v_cmp_ne_u32_e32 vcc, 0, v5
	v_readlane_b32 s2, v253, 39
	v_readlane_b32 s3, v253, 40
	v_xor_b32_e32 v5, vcc_hi, v13
	v_and_b32_e32 v2, exec_lo, v2
	v_accvgpr_read_b32 v4, a26
	v_and_b32_e32 v0, v0, v5
	v_cndmask_b32_e64 v5, 0, 1, s[2:3]
	v_and_b32_e32 v2, v2, v18
	v_xor_b32_e32 v18, vcc_lo, v4
	v_cmp_ne_u32_e32 vcc, 0, v5
	v_readlane_b32 s2, v253, 41
	v_readlane_b32 s3, v253, 42
	v_xor_b32_e32 v5, vcc_hi, v39
	v_and_b32_e32 v0, v0, v5
	v_cndmask_b32_e64 v5, 0, 1, s[2:3]
	v_and_b32_e32 v2, v2, v18
	v_xor_b32_e32 v18, vcc_lo, v38
	v_cmp_ne_u32_e32 vcc, 0, v5
	v_readlane_b32 s2, v253, 43
	v_readlane_b32 s3, v253, 44
	v_xor_b32_e32 v5, vcc_hi, v41
	v_and_b32_e32 v0, v0, v5
	v_cndmask_b32_e64 v5, 0, 1, s[2:3]
	v_and_b32_e32 v2, v2, v18
	v_xor_b32_e32 v18, vcc_lo, v40
	v_cmp_ne_u32_e32 vcc, 0, v5
	v_readlane_b32 s2, v253, 45
	v_readlane_b32 s3, v253, 46
	v_xor_b32_e32 v5, vcc_hi, v43
	v_and_b32_e32 v0, v0, v5
	v_cndmask_b32_e64 v5, 0, 1, s[2:3]
	v_and_b32_e32 v2, v2, v18
	v_xor_b32_e32 v18, vcc_lo, v42
	v_cmp_ne_u32_e32 vcc, 0, v5
	v_readlane_b32 s2, v253, 47
	v_readlane_b32 s3, v253, 48
	v_xor_b32_e32 v5, vcc_hi, v45
	v_and_b32_e32 v0, v0, v5
	v_cndmask_b32_e64 v5, 0, 1, s[2:3]
	v_and_b32_e32 v2, v2, v18
	v_xor_b32_e32 v18, vcc_lo, v44
	v_cmp_ne_u32_e32 vcc, 0, v5
	v_and_b32_e32 v2, v2, v18
	s_barrier
	v_xor_b32_e32 v5, vcc_hi, v47
	v_xor_b32_e32 v18, vcc_lo, v46
	v_and_b32_e32 v5, v0, v5
	v_and_b32_e32 v0, v2, v18
	v_mbcnt_lo_u32_b32 v2, v0, 0
	v_mbcnt_hi_u32_b32 v2, v5, v2
	v_cmp_eq_u32_e32 vcc, 0, v2
	s_and_saveexec_b64 s[2:3], vcc
	s_cbranch_execz .LBB5_6
; %bb.5:                                ;   in Loop: Header=BB5_2 Depth=1
	v_bcnt_u32_b32 v0, v0, 0
	v_bcnt_u32_b32 v0, v5, v0
	ds_add_u32 v20, v0
.LBB5_6:                                ;   in Loop: Header=BB5_2 Depth=1
	s_or_b64 exec, exec, s[2:3]
	v_readlane_b32 s2, v253, 7
	v_readlane_b32 s3, v253, 8
	v_accvgpr_read_b32 v4, a10
	v_accvgpr_read_b32 v5, a11
	v_cndmask_b32_e64 v0, 0, 1, s[2:3]
	v_readlane_b32 s2, v253, 49
	v_cmp_ne_u32_e32 vcc, 0, v0
	v_readlane_b32 s3, v253, 50
	s_nop 0
	v_xor_b32_e32 v0, vcc_hi, v5
	v_cndmask_b32_e64 v5, 0, 1, s[2:3]
	v_xor_b32_e32 v2, vcc_lo, v4
	v_cmp_ne_u32_e32 vcc, 0, v5
	v_readlane_b32 s2, v253, 51
	v_and_b32_e32 v0, exec_hi, v0
	v_xor_b32_e32 v5, vcc_hi, v49
	v_readlane_b32 s3, v253, 52
	v_and_b32_e32 v0, v0, v5
	v_xor_b32_e32 v18, vcc_lo, v48
	v_cndmask_b32_e64 v5, 0, 1, s[2:3]
	v_cmp_ne_u32_e32 vcc, 0, v5
	v_readlane_b32 s2, v253, 53
	v_readlane_b32 s3, v253, 54
	v_xor_b32_e32 v5, vcc_hi, v51
	v_and_b32_e32 v2, exec_lo, v2
	v_and_b32_e32 v0, v0, v5
	v_cndmask_b32_e64 v5, 0, 1, s[2:3]
	v_and_b32_e32 v2, v2, v18
	v_xor_b32_e32 v18, vcc_lo, v50
	v_cmp_ne_u32_e32 vcc, 0, v5
	v_readlane_b32 s2, v253, 55
	v_readlane_b32 s3, v253, 56
	v_xor_b32_e32 v5, vcc_hi, v53
	v_and_b32_e32 v0, v0, v5
	v_cndmask_b32_e64 v5, 0, 1, s[2:3]
	v_and_b32_e32 v2, v2, v18
	v_xor_b32_e32 v18, vcc_lo, v52
	v_cmp_ne_u32_e32 vcc, 0, v5
	v_readlane_b32 s2, v253, 57
	v_readlane_b32 s3, v253, 58
	v_xor_b32_e32 v5, vcc_hi, v55
	;; [unrolled: 8-line block ×4, first 2 shown]
	v_and_b32_e32 v0, v0, v5
	v_cndmask_b32_e64 v5, 0, 1, s[2:3]
	v_and_b32_e32 v2, v2, v18
	v_xor_b32_e32 v18, vcc_lo, v58
	v_cmp_ne_u32_e32 vcc, 0, v5
	v_and_b32_e32 v2, v2, v18
	s_nop 0
	v_xor_b32_e32 v5, vcc_hi, v61
	v_xor_b32_e32 v18, vcc_lo, v60
	v_and_b32_e32 v5, v0, v5
	v_and_b32_e32 v0, v2, v18
	v_mbcnt_lo_u32_b32 v2, v0, 0
	v_mbcnt_hi_u32_b32 v2, v5, v2
	v_cmp_eq_u32_e32 vcc, 0, v2
	s_and_saveexec_b64 s[2:3], vcc
	s_cbranch_execz .LBB5_8
; %bb.7:                                ;   in Loop: Header=BB5_2 Depth=1
	v_bcnt_u32_b32 v0, v0, 0
	v_bcnt_u32_b32 v0, v5, v0
	v_accvgpr_read_b32 v2, a0
	ds_add_u32 v2, v0
.LBB5_8:                                ;   in Loop: Header=BB5_2 Depth=1
	s_or_b64 exec, exec, s[2:3]
	v_readlane_b32 s2, v253, 9
	v_readlane_b32 s3, v253, 10
	v_accvgpr_read_b32 v4, a12
	v_accvgpr_read_b32 v5, a13
	v_cndmask_b32_e64 v0, 0, 1, s[2:3]
	v_readlane_b32 s2, v253, 63
	v_cmp_ne_u32_e32 vcc, 0, v0
	v_readlane_b32 s3, v254, 0
	s_nop 0
	v_xor_b32_e32 v0, vcc_hi, v5
	v_cndmask_b32_e64 v5, 0, 1, s[2:3]
	v_xor_b32_e32 v2, vcc_lo, v4
	v_cmp_ne_u32_e32 vcc, 0, v5
	v_readlane_b32 s2, v254, 1
	v_and_b32_e32 v0, exec_hi, v0
	v_xor_b32_e32 v5, vcc_hi, v63
	v_readlane_b32 s3, v254, 2
	v_and_b32_e32 v0, v0, v5
	v_xor_b32_e32 v18, vcc_lo, v62
	v_cndmask_b32_e64 v5, 0, 1, s[2:3]
	v_cmp_ne_u32_e32 vcc, 0, v5
	v_readlane_b32 s2, v254, 3
	v_readlane_b32 s3, v254, 4
	v_xor_b32_e32 v5, vcc_hi, v65
	v_and_b32_e32 v2, exec_lo, v2
	v_and_b32_e32 v0, v0, v5
	v_cndmask_b32_e64 v5, 0, 1, s[2:3]
	v_and_b32_e32 v2, v2, v18
	v_xor_b32_e32 v18, vcc_lo, v64
	v_cmp_ne_u32_e32 vcc, 0, v5
	v_readlane_b32 s2, v254, 5
	v_readlane_b32 s3, v254, 6
	v_xor_b32_e32 v5, vcc_hi, v67
	v_and_b32_e32 v0, v0, v5
	v_cndmask_b32_e64 v5, 0, 1, s[2:3]
	v_and_b32_e32 v2, v2, v18
	v_xor_b32_e32 v18, vcc_lo, v66
	v_cmp_ne_u32_e32 vcc, 0, v5
	v_readlane_b32 s2, v254, 7
	v_readlane_b32 s3, v254, 8
	v_xor_b32_e32 v5, vcc_hi, v69
	;; [unrolled: 8-line block ×4, first 2 shown]
	v_and_b32_e32 v0, v0, v5
	v_cndmask_b32_e64 v5, 0, 1, s[2:3]
	v_and_b32_e32 v2, v2, v18
	v_xor_b32_e32 v18, vcc_lo, v72
	v_cmp_ne_u32_e32 vcc, 0, v5
	v_and_b32_e32 v2, v2, v18
	s_nop 0
	v_xor_b32_e32 v5, vcc_hi, v75
	v_xor_b32_e32 v18, vcc_lo, v74
	v_and_b32_e32 v5, v0, v5
	v_and_b32_e32 v0, v2, v18
	v_mbcnt_lo_u32_b32 v2, v0, 0
	v_mbcnt_hi_u32_b32 v2, v5, v2
	v_cmp_eq_u32_e32 vcc, 0, v2
	s_and_saveexec_b64 s[2:3], vcc
	s_cbranch_execz .LBB5_10
; %bb.9:                                ;   in Loop: Header=BB5_2 Depth=1
	v_bcnt_u32_b32 v0, v0, 0
	v_bcnt_u32_b32 v0, v5, v0
	v_accvgpr_read_b32 v2, a1
	ds_add_u32 v2, v0
.LBB5_10:                               ;   in Loop: Header=BB5_2 Depth=1
	s_or_b64 exec, exec, s[2:3]
	v_readlane_b32 s2, v253, 11
	v_readlane_b32 s3, v253, 12
	v_accvgpr_read_b32 v4, a14
	v_accvgpr_read_b32 v5, a15
	v_cndmask_b32_e64 v0, 0, 1, s[2:3]
	v_readlane_b32 s2, v254, 13
	v_cmp_ne_u32_e32 vcc, 0, v0
	v_readlane_b32 s3, v254, 14
	s_nop 0
	v_xor_b32_e32 v0, vcc_hi, v5
	v_cndmask_b32_e64 v5, 0, 1, s[2:3]
	v_xor_b32_e32 v2, vcc_lo, v4
	v_cmp_ne_u32_e32 vcc, 0, v5
	v_readlane_b32 s2, v254, 15
	v_and_b32_e32 v0, exec_hi, v0
	v_xor_b32_e32 v5, vcc_hi, v77
	v_readlane_b32 s3, v254, 16
	v_and_b32_e32 v0, v0, v5
	v_xor_b32_e32 v18, vcc_lo, v76
	v_cndmask_b32_e64 v5, 0, 1, s[2:3]
	v_cmp_ne_u32_e32 vcc, 0, v5
	v_readlane_b32 s2, v254, 17
	v_readlane_b32 s3, v254, 18
	v_xor_b32_e32 v5, vcc_hi, v79
	v_and_b32_e32 v2, exec_lo, v2
	v_and_b32_e32 v0, v0, v5
	v_cndmask_b32_e64 v5, 0, 1, s[2:3]
	v_and_b32_e32 v2, v2, v18
	v_xor_b32_e32 v18, vcc_lo, v78
	v_cmp_ne_u32_e32 vcc, 0, v5
	v_readlane_b32 s2, v254, 19
	v_readlane_b32 s3, v254, 20
	v_xor_b32_e32 v5, vcc_hi, v81
	v_and_b32_e32 v0, v0, v5
	v_cndmask_b32_e64 v5, 0, 1, s[2:3]
	v_and_b32_e32 v2, v2, v18
	v_xor_b32_e32 v18, vcc_lo, v80
	v_cmp_ne_u32_e32 vcc, 0, v5
	v_readlane_b32 s2, v254, 21
	v_readlane_b32 s3, v254, 22
	v_xor_b32_e32 v5, vcc_hi, v83
	;; [unrolled: 8-line block ×4, first 2 shown]
	v_and_b32_e32 v0, v0, v5
	v_cndmask_b32_e64 v5, 0, 1, s[2:3]
	v_and_b32_e32 v2, v2, v18
	v_xor_b32_e32 v18, vcc_lo, v86
	v_cmp_ne_u32_e32 vcc, 0, v5
	v_and_b32_e32 v2, v2, v18
	s_nop 0
	v_xor_b32_e32 v5, vcc_hi, v89
	v_xor_b32_e32 v18, vcc_lo, v88
	v_and_b32_e32 v5, v0, v5
	v_and_b32_e32 v0, v2, v18
	v_mbcnt_lo_u32_b32 v2, v0, 0
	v_mbcnt_hi_u32_b32 v2, v5, v2
	v_cmp_eq_u32_e32 vcc, 0, v2
	s_and_saveexec_b64 s[2:3], vcc
	s_cbranch_execz .LBB5_12
; %bb.11:                               ;   in Loop: Header=BB5_2 Depth=1
	v_bcnt_u32_b32 v0, v0, 0
	v_bcnt_u32_b32 v0, v5, v0
	v_accvgpr_read_b32 v2, a2
	ds_add_u32 v2, v0
.LBB5_12:                               ;   in Loop: Header=BB5_2 Depth=1
	s_or_b64 exec, exec, s[2:3]
	v_readlane_b32 s2, v253, 13
	v_readlane_b32 s3, v253, 14
	s_nop 1
	v_cndmask_b32_e64 v0, 0, 1, s[2:3]
	v_readlane_b32 s2, v254, 27
	v_readlane_b32 s3, v254, 28
	v_cmp_ne_u32_e32 vcc, 0, v0
	s_nop 0
	v_cndmask_b32_e64 v5, 0, 1, s[2:3]
	v_xor_b32_e32 v0, vcc_hi, v25
	v_xor_b32_e32 v2, vcc_lo, v24
	v_cmp_ne_u32_e32 vcc, 0, v5
	v_readlane_b32 s2, v254, 29
	v_and_b32_e32 v0, exec_hi, v0
	v_xor_b32_e32 v5, vcc_hi, v91
	v_readlane_b32 s3, v254, 30
	v_and_b32_e32 v0, v0, v5
	v_xor_b32_e32 v18, vcc_lo, v90
	v_cndmask_b32_e64 v5, 0, 1, s[2:3]
	v_cmp_ne_u32_e32 vcc, 0, v5
	v_readlane_b32 s2, v254, 31
	v_readlane_b32 s3, v254, 32
	v_xor_b32_e32 v5, vcc_hi, v93
	v_and_b32_e32 v2, exec_lo, v2
	v_and_b32_e32 v0, v0, v5
	v_cndmask_b32_e64 v5, 0, 1, s[2:3]
	v_and_b32_e32 v2, v2, v18
	v_xor_b32_e32 v18, vcc_lo, v92
	v_cmp_ne_u32_e32 vcc, 0, v5
	v_readlane_b32 s2, v254, 33
	v_readlane_b32 s3, v254, 34
	v_xor_b32_e32 v5, vcc_hi, v95
	v_and_b32_e32 v0, v0, v5
	v_cndmask_b32_e64 v5, 0, 1, s[2:3]
	v_and_b32_e32 v2, v2, v18
	v_xor_b32_e32 v18, vcc_lo, v94
	v_cmp_ne_u32_e32 vcc, 0, v5
	v_readlane_b32 s2, v254, 35
	v_readlane_b32 s3, v254, 36
	v_xor_b32_e32 v5, vcc_hi, v97
	;; [unrolled: 8-line block ×4, first 2 shown]
	v_and_b32_e32 v0, v0, v5
	v_cndmask_b32_e64 v5, 0, 1, s[2:3]
	v_and_b32_e32 v2, v2, v18
	v_xor_b32_e32 v18, vcc_lo, v100
	v_cmp_ne_u32_e32 vcc, 0, v5
	v_and_b32_e32 v2, v2, v18
	s_nop 0
	v_xor_b32_e32 v5, vcc_hi, v103
	v_xor_b32_e32 v18, vcc_lo, v102
	v_and_b32_e32 v5, v0, v5
	v_and_b32_e32 v0, v2, v18
	v_mbcnt_lo_u32_b32 v2, v0, 0
	v_mbcnt_hi_u32_b32 v2, v5, v2
	v_cmp_eq_u32_e32 vcc, 0, v2
	s_and_saveexec_b64 s[2:3], vcc
	s_cbranch_execz .LBB5_14
; %bb.13:                               ;   in Loop: Header=BB5_2 Depth=1
	v_bcnt_u32_b32 v0, v0, 0
	v_bcnt_u32_b32 v0, v5, v0
	v_accvgpr_read_b32 v2, a3
	ds_add_u32 v2, v0
.LBB5_14:                               ;   in Loop: Header=BB5_2 Depth=1
	s_or_b64 exec, exec, s[2:3]
	v_readlane_b32 s2, v253, 15
	v_readlane_b32 s3, v253, 16
	s_nop 1
	v_cndmask_b32_e64 v0, 0, 1, s[2:3]
	v_readlane_b32 s2, v254, 41
	v_readlane_b32 s3, v254, 42
	v_cmp_ne_u32_e32 vcc, 0, v0
	s_nop 0
	v_cndmask_b32_e64 v5, 0, 1, s[2:3]
	v_xor_b32_e32 v0, vcc_hi, v7
	v_xor_b32_e32 v2, vcc_lo, v6
	v_cmp_ne_u32_e32 vcc, 0, v5
	v_readlane_b32 s2, v254, 43
	v_and_b32_e32 v0, exec_hi, v0
	v_xor_b32_e32 v5, vcc_hi, v105
	v_readlane_b32 s3, v254, 44
	v_and_b32_e32 v0, v0, v5
	v_xor_b32_e32 v18, vcc_lo, v104
	v_cndmask_b32_e64 v5, 0, 1, s[2:3]
	v_cmp_ne_u32_e32 vcc, 0, v5
	v_readlane_b32 s2, v254, 45
	v_readlane_b32 s3, v254, 46
	v_xor_b32_e32 v5, vcc_hi, v107
	v_and_b32_e32 v2, exec_lo, v2
	v_and_b32_e32 v0, v0, v5
	v_cndmask_b32_e64 v5, 0, 1, s[2:3]
	v_and_b32_e32 v2, v2, v18
	v_xor_b32_e32 v18, vcc_lo, v106
	v_cmp_ne_u32_e32 vcc, 0, v5
	v_readlane_b32 s2, v254, 47
	v_readlane_b32 s3, v254, 48
	v_xor_b32_e32 v5, vcc_hi, v109
	v_and_b32_e32 v0, v0, v5
	v_cndmask_b32_e64 v5, 0, 1, s[2:3]
	v_and_b32_e32 v2, v2, v18
	v_xor_b32_e32 v18, vcc_lo, v108
	v_cmp_ne_u32_e32 vcc, 0, v5
	v_readlane_b32 s2, v254, 49
	v_readlane_b32 s3, v254, 50
	v_xor_b32_e32 v5, vcc_hi, v111
	;; [unrolled: 8-line block ×4, first 2 shown]
	v_and_b32_e32 v0, v0, v5
	v_cndmask_b32_e64 v5, 0, 1, s[2:3]
	v_and_b32_e32 v2, v2, v18
	v_xor_b32_e32 v18, vcc_lo, v114
	v_cmp_ne_u32_e32 vcc, 0, v5
	v_and_b32_e32 v2, v2, v18
	s_nop 0
	v_xor_b32_e32 v5, vcc_hi, v117
	v_xor_b32_e32 v18, vcc_lo, v116
	v_and_b32_e32 v5, v0, v5
	v_and_b32_e32 v0, v2, v18
	v_mbcnt_lo_u32_b32 v2, v0, 0
	v_mbcnt_hi_u32_b32 v2, v5, v2
	v_cmp_eq_u32_e32 vcc, 0, v2
	s_and_saveexec_b64 s[2:3], vcc
	s_cbranch_execz .LBB5_16
; %bb.15:                               ;   in Loop: Header=BB5_2 Depth=1
	v_bcnt_u32_b32 v0, v0, 0
	v_bcnt_u32_b32 v0, v5, v0
	v_accvgpr_read_b32 v2, a4
	ds_add_u32 v2, v0
.LBB5_16:                               ;   in Loop: Header=BB5_2 Depth=1
	s_or_b64 exec, exec, s[2:3]
	v_readlane_b32 s2, v253, 17
	v_readlane_b32 s3, v253, 18
	s_nop 1
	v_cndmask_b32_e64 v0, 0, 1, s[2:3]
	v_readlane_b32 s2, v254, 55
	v_readlane_b32 s3, v254, 56
	v_cmp_ne_u32_e32 vcc, 0, v0
	s_nop 0
	v_cndmask_b32_e64 v5, 0, 1, s[2:3]
	v_xor_b32_e32 v0, vcc_hi, v27
	v_xor_b32_e32 v2, vcc_lo, v26
	v_cmp_ne_u32_e32 vcc, 0, v5
	v_readlane_b32 s2, v254, 57
	v_and_b32_e32 v0, exec_hi, v0
	v_xor_b32_e32 v5, vcc_hi, v119
	v_readlane_b32 s3, v254, 58
	v_and_b32_e32 v0, v0, v5
	v_xor_b32_e32 v18, vcc_lo, v118
	v_cndmask_b32_e64 v5, 0, 1, s[2:3]
	v_cmp_ne_u32_e32 vcc, 0, v5
	v_readlane_b32 s2, v254, 59
	v_readlane_b32 s3, v254, 60
	v_xor_b32_e32 v5, vcc_hi, v121
	v_and_b32_e32 v2, exec_lo, v2
	v_and_b32_e32 v0, v0, v5
	v_cndmask_b32_e64 v5, 0, 1, s[2:3]
	v_and_b32_e32 v2, v2, v18
	v_xor_b32_e32 v18, vcc_lo, v120
	v_cmp_ne_u32_e32 vcc, 0, v5
	v_readlane_b32 s2, v254, 61
	v_readlane_b32 s3, v254, 62
	v_xor_b32_e32 v5, vcc_hi, v123
	v_and_b32_e32 v0, v0, v5
	v_cndmask_b32_e64 v5, 0, 1, s[2:3]
	v_and_b32_e32 v2, v2, v18
	v_xor_b32_e32 v18, vcc_lo, v122
	v_cmp_ne_u32_e32 vcc, 0, v5
	v_readlane_b32 s2, v254, 63
	v_readlane_b32 s3, v255, 0
	v_xor_b32_e32 v5, vcc_hi, v125
	;; [unrolled: 8-line block ×4, first 2 shown]
	v_and_b32_e32 v0, v0, v5
	v_cndmask_b32_e64 v5, 0, 1, s[2:3]
	v_and_b32_e32 v2, v2, v18
	v_xor_b32_e32 v18, vcc_lo, v128
	v_cmp_ne_u32_e32 vcc, 0, v5
	v_and_b32_e32 v2, v2, v18
	s_nop 0
	v_xor_b32_e32 v5, vcc_hi, v131
	v_xor_b32_e32 v18, vcc_lo, v130
	v_and_b32_e32 v5, v0, v5
	v_and_b32_e32 v0, v2, v18
	v_mbcnt_lo_u32_b32 v2, v0, 0
	v_mbcnt_hi_u32_b32 v2, v5, v2
	v_cmp_eq_u32_e32 vcc, 0, v2
	s_and_saveexec_b64 s[2:3], vcc
	s_cbranch_execz .LBB5_18
; %bb.17:                               ;   in Loop: Header=BB5_2 Depth=1
	v_bcnt_u32_b32 v0, v0, 0
	v_bcnt_u32_b32 v0, v5, v0
	v_accvgpr_read_b32 v2, a5
	ds_add_u32 v2, v0
.LBB5_18:                               ;   in Loop: Header=BB5_2 Depth=1
	s_or_b64 exec, exec, s[2:3]
	v_readlane_b32 s2, v253, 19
	v_readlane_b32 s3, v253, 20
	s_nop 1
	v_cndmask_b32_e64 v0, 0, 1, s[2:3]
	v_readlane_b32 s2, v255, 5
	v_readlane_b32 s3, v255, 6
	v_cmp_ne_u32_e32 vcc, 0, v0
	s_nop 0
	v_cndmask_b32_e64 v5, 0, 1, s[2:3]
	v_xor_b32_e32 v0, vcc_hi, v9
	v_xor_b32_e32 v2, vcc_lo, v8
	v_cmp_ne_u32_e32 vcc, 0, v5
	v_readlane_b32 s2, v255, 7
	v_and_b32_e32 v0, exec_hi, v0
	v_xor_b32_e32 v5, vcc_hi, v133
	v_readlane_b32 s3, v255, 8
	v_and_b32_e32 v0, v0, v5
	v_xor_b32_e32 v18, vcc_lo, v132
	v_cndmask_b32_e64 v5, 0, 1, s[2:3]
	v_cmp_ne_u32_e32 vcc, 0, v5
	v_readlane_b32 s2, v255, 9
	v_readlane_b32 s3, v255, 10
	v_xor_b32_e32 v5, vcc_hi, v135
	v_and_b32_e32 v2, exec_lo, v2
	v_and_b32_e32 v0, v0, v5
	v_cndmask_b32_e64 v5, 0, 1, s[2:3]
	v_and_b32_e32 v2, v2, v18
	v_xor_b32_e32 v18, vcc_lo, v134
	v_cmp_ne_u32_e32 vcc, 0, v5
	v_readlane_b32 s2, v255, 11
	v_readlane_b32 s3, v255, 12
	v_xor_b32_e32 v5, vcc_hi, v137
	v_and_b32_e32 v0, v0, v5
	v_cndmask_b32_e64 v5, 0, 1, s[2:3]
	v_and_b32_e32 v2, v2, v18
	v_xor_b32_e32 v18, vcc_lo, v136
	v_cmp_ne_u32_e32 vcc, 0, v5
	v_readlane_b32 s2, v255, 13
	v_readlane_b32 s3, v255, 14
	v_xor_b32_e32 v5, vcc_hi, v139
	;; [unrolled: 8-line block ×4, first 2 shown]
	v_and_b32_e32 v0, v0, v5
	v_cndmask_b32_e64 v5, 0, 1, s[2:3]
	v_and_b32_e32 v2, v2, v18
	v_xor_b32_e32 v18, vcc_lo, v142
	v_cmp_ne_u32_e32 vcc, 0, v5
	v_and_b32_e32 v2, v2, v18
	s_nop 0
	v_xor_b32_e32 v5, vcc_hi, v145
	v_xor_b32_e32 v18, vcc_lo, v144
	v_and_b32_e32 v5, v0, v5
	v_and_b32_e32 v0, v2, v18
	v_mbcnt_lo_u32_b32 v2, v0, 0
	v_mbcnt_hi_u32_b32 v2, v5, v2
	v_cmp_eq_u32_e32 vcc, 0, v2
	s_and_saveexec_b64 s[2:3], vcc
	s_cbranch_execz .LBB5_20
; %bb.19:                               ;   in Loop: Header=BB5_2 Depth=1
	v_bcnt_u32_b32 v0, v0, 0
	v_bcnt_u32_b32 v0, v5, v0
	v_accvgpr_read_b32 v2, a6
	ds_add_u32 v2, v0
.LBB5_20:                               ;   in Loop: Header=BB5_2 Depth=1
	s_or_b64 exec, exec, s[2:3]
	v_readlane_b32 s2, v253, 21
	v_readlane_b32 s3, v253, 22
	s_nop 1
	v_cndmask_b32_e64 v0, 0, 1, s[2:3]
	v_readlane_b32 s2, v255, 19
	v_readlane_b32 s3, v255, 20
	v_cmp_ne_u32_e32 vcc, 0, v0
	s_nop 0
	v_cndmask_b32_e64 v5, 0, 1, s[2:3]
	v_xor_b32_e32 v0, vcc_hi, v29
	v_xor_b32_e32 v2, vcc_lo, v28
	v_cmp_ne_u32_e32 vcc, 0, v5
	v_readlane_b32 s2, v255, 21
	v_and_b32_e32 v0, exec_hi, v0
	v_xor_b32_e32 v5, vcc_hi, v147
	v_readlane_b32 s3, v255, 22
	v_and_b32_e32 v0, v0, v5
	v_xor_b32_e32 v18, vcc_lo, v146
	v_cndmask_b32_e64 v5, 0, 1, s[2:3]
	v_cmp_ne_u32_e32 vcc, 0, v5
	v_readlane_b32 s2, v255, 23
	v_readlane_b32 s3, v255, 24
	v_xor_b32_e32 v5, vcc_hi, v149
	v_and_b32_e32 v2, exec_lo, v2
	v_and_b32_e32 v0, v0, v5
	v_cndmask_b32_e64 v5, 0, 1, s[2:3]
	v_and_b32_e32 v2, v2, v18
	v_xor_b32_e32 v18, vcc_lo, v148
	v_cmp_ne_u32_e32 vcc, 0, v5
	v_readlane_b32 s2, v255, 25
	v_readlane_b32 s3, v255, 26
	v_xor_b32_e32 v5, vcc_hi, v151
	v_and_b32_e32 v0, v0, v5
	v_cndmask_b32_e64 v5, 0, 1, s[2:3]
	v_and_b32_e32 v2, v2, v18
	v_xor_b32_e32 v18, vcc_lo, v150
	v_cmp_ne_u32_e32 vcc, 0, v5
	v_readlane_b32 s2, v255, 27
	v_readlane_b32 s3, v255, 28
	v_xor_b32_e32 v5, vcc_hi, v153
	;; [unrolled: 8-line block ×4, first 2 shown]
	v_and_b32_e32 v0, v0, v5
	v_cndmask_b32_e64 v5, 0, 1, s[2:3]
	v_and_b32_e32 v2, v2, v18
	v_xor_b32_e32 v18, vcc_lo, v156
	v_cmp_ne_u32_e32 vcc, 0, v5
	v_and_b32_e32 v2, v2, v18
	s_nop 0
	v_xor_b32_e32 v5, vcc_hi, v159
	v_xor_b32_e32 v18, vcc_lo, v158
	v_and_b32_e32 v5, v0, v5
	v_and_b32_e32 v0, v2, v18
	v_mbcnt_lo_u32_b32 v2, v0, 0
	v_mbcnt_hi_u32_b32 v2, v5, v2
	v_cmp_eq_u32_e32 vcc, 0, v2
	s_and_saveexec_b64 s[2:3], vcc
	s_cbranch_execz .LBB5_22
; %bb.21:                               ;   in Loop: Header=BB5_2 Depth=1
	v_bcnt_u32_b32 v0, v0, 0
	v_bcnt_u32_b32 v0, v5, v0
	v_accvgpr_read_b32 v2, a7
	ds_add_u32 v2, v0
.LBB5_22:                               ;   in Loop: Header=BB5_2 Depth=1
	s_or_b64 exec, exec, s[2:3]
	v_readlane_b32 s2, v253, 23
	v_readlane_b32 s3, v253, 24
	s_nop 1
	v_cndmask_b32_e64 v0, 0, 1, s[2:3]
	v_readlane_b32 s2, v255, 33
	v_readlane_b32 s3, v255, 34
	v_cmp_ne_u32_e32 vcc, 0, v0
	s_nop 0
	v_cndmask_b32_e64 v5, 0, 1, s[2:3]
	v_xor_b32_e32 v0, vcc_hi, v31
	v_xor_b32_e32 v2, vcc_lo, v30
	v_cmp_ne_u32_e32 vcc, 0, v5
	v_readlane_b32 s2, v255, 35
	v_and_b32_e32 v0, exec_hi, v0
	v_xor_b32_e32 v5, vcc_hi, v161
	v_readlane_b32 s3, v255, 36
	v_and_b32_e32 v0, v0, v5
	v_xor_b32_e32 v18, vcc_lo, v160
	v_cndmask_b32_e64 v5, 0, 1, s[2:3]
	v_cmp_ne_u32_e32 vcc, 0, v5
	v_readlane_b32 s2, v255, 37
	v_readlane_b32 s3, v255, 38
	v_xor_b32_e32 v5, vcc_hi, v163
	v_and_b32_e32 v2, exec_lo, v2
	v_and_b32_e32 v0, v0, v5
	v_cndmask_b32_e64 v5, 0, 1, s[2:3]
	v_and_b32_e32 v2, v2, v18
	v_xor_b32_e32 v18, vcc_lo, v162
	v_cmp_ne_u32_e32 vcc, 0, v5
	v_and_b32_e32 v2, v2, v18
	s_nop 0
	v_xor_b32_e32 v5, vcc_hi, v165
	v_and_b32_e32 v0, v0, v5
	v_cndmask_b32_e64 v5, 0, 1, s[64:65]
	v_xor_b32_e32 v18, vcc_lo, v164
	v_cmp_ne_u32_e32 vcc, 0, v5
	v_and_b32_e32 v2, v2, v18
	s_nop 0
	v_xor_b32_e32 v5, vcc_hi, v167
	v_and_b32_e32 v0, v0, v5
	v_cndmask_b32_e64 v5, 0, 1, s[66:67]
	;; [unrolled: 7-line block ×4, first 2 shown]
	v_xor_b32_e32 v18, vcc_lo, v170
	v_cmp_ne_u32_e32 vcc, 0, v5
	v_and_b32_e32 v2, v2, v18
	s_nop 0
	v_xor_b32_e32 v5, vcc_hi, v173
	v_xor_b32_e32 v18, vcc_lo, v172
	v_and_b32_e32 v5, v0, v5
	v_and_b32_e32 v0, v2, v18
	v_mbcnt_lo_u32_b32 v2, v0, 0
	v_mbcnt_hi_u32_b32 v2, v5, v2
	v_cmp_eq_u32_e32 vcc, 0, v2
	s_and_saveexec_b64 s[2:3], vcc
	s_cbranch_execz .LBB5_24
; %bb.23:                               ;   in Loop: Header=BB5_2 Depth=1
	v_bcnt_u32_b32 v0, v0, 0
	v_bcnt_u32_b32 v0, v5, v0
	v_accvgpr_read_b32 v2, a16
	ds_add_u32 v2, v0
.LBB5_24:                               ;   in Loop: Header=BB5_2 Depth=1
	s_or_b64 exec, exec, s[2:3]
	v_readlane_b32 s2, v253, 25
	v_readlane_b32 s3, v253, 26
	v_cndmask_b32_e64 v5, 0, 1, s[72:73]
	s_nop 0
	v_cndmask_b32_e64 v0, 0, 1, s[2:3]
	v_cmp_ne_u32_e32 vcc, 0, v0
	s_nop 1
	v_xor_b32_e32 v0, vcc_hi, v33
	v_xor_b32_e32 v2, vcc_lo, v32
	v_cmp_ne_u32_e32 vcc, 0, v5
	v_and_b32_e32 v0, exec_hi, v0
	v_and_b32_e32 v2, exec_lo, v2
	v_xor_b32_e32 v5, vcc_hi, v175
	v_and_b32_e32 v0, v0, v5
	v_cndmask_b32_e64 v5, 0, 1, s[74:75]
	v_xor_b32_e32 v18, vcc_lo, v174
	v_cmp_ne_u32_e32 vcc, 0, v5
	v_and_b32_e32 v2, v2, v18
	s_nop 0
	v_xor_b32_e32 v5, vcc_hi, v177
	v_and_b32_e32 v0, v0, v5
	v_cndmask_b32_e64 v5, 0, 1, s[76:77]
	v_xor_b32_e32 v18, vcc_lo, v176
	v_cmp_ne_u32_e32 vcc, 0, v5
	v_and_b32_e32 v2, v2, v18
	s_nop 0
	;; [unrolled: 7-line block ×6, first 2 shown]
	v_xor_b32_e32 v5, vcc_hi, v187
	v_xor_b32_e32 v18, vcc_lo, v186
	v_and_b32_e32 v5, v0, v5
	v_and_b32_e32 v0, v2, v18
	v_mbcnt_lo_u32_b32 v2, v0, 0
	v_mbcnt_hi_u32_b32 v2, v5, v2
	v_cmp_eq_u32_e32 vcc, 0, v2
	s_and_saveexec_b64 s[2:3], vcc
	s_cbranch_execz .LBB5_26
; %bb.25:                               ;   in Loop: Header=BB5_2 Depth=1
	v_bcnt_u32_b32 v0, v0, 0
	v_bcnt_u32_b32 v0, v5, v0
	v_accvgpr_read_b32 v2, a17
	ds_add_u32 v2, v0
.LBB5_26:                               ;   in Loop: Header=BB5_2 Depth=1
	s_or_b64 exec, exec, s[2:3]
	v_readlane_b32 s2, v253, 27
	v_readlane_b32 s3, v253, 28
	v_cndmask_b32_e64 v5, 0, 1, s[86:87]
	s_nop 0
	v_cndmask_b32_e64 v0, 0, 1, s[2:3]
	v_cmp_ne_u32_e32 vcc, 0, v0
	s_nop 1
	v_xor_b32_e32 v0, vcc_hi, v15
	v_xor_b32_e32 v2, vcc_lo, v14
	v_cmp_ne_u32_e32 vcc, 0, v5
	v_and_b32_e32 v0, exec_hi, v0
	v_and_b32_e32 v2, exec_lo, v2
	v_xor_b32_e32 v5, vcc_hi, v189
	v_and_b32_e32 v0, v0, v5
	v_cndmask_b32_e64 v5, 0, 1, s[88:89]
	v_xor_b32_e32 v18, vcc_lo, v188
	v_cmp_ne_u32_e32 vcc, 0, v5
	v_and_b32_e32 v2, v2, v18
	s_nop 0
	v_xor_b32_e32 v5, vcc_hi, v191
	v_and_b32_e32 v0, v0, v5
	v_cndmask_b32_e64 v5, 0, 1, s[90:91]
	v_xor_b32_e32 v18, vcc_lo, v190
	v_cmp_ne_u32_e32 vcc, 0, v5
	v_and_b32_e32 v2, v2, v18
	s_nop 0
	;; [unrolled: 7-line block ×6, first 2 shown]
	v_xor_b32_e32 v5, vcc_hi, v201
	v_xor_b32_e32 v18, vcc_lo, v200
	v_and_b32_e32 v5, v0, v5
	v_and_b32_e32 v0, v2, v18
	v_mbcnt_lo_u32_b32 v2, v0, 0
	v_mbcnt_hi_u32_b32 v2, v5, v2
	v_cmp_eq_u32_e32 vcc, 0, v2
	s_and_saveexec_b64 s[2:3], vcc
	s_cbranch_execz .LBB5_28
; %bb.27:                               ;   in Loop: Header=BB5_2 Depth=1
	v_bcnt_u32_b32 v0, v0, 0
	v_bcnt_u32_b32 v0, v5, v0
	v_accvgpr_read_b32 v2, a18
	ds_add_u32 v2, v0
.LBB5_28:                               ;   in Loop: Header=BB5_2 Depth=1
	s_or_b64 exec, exec, s[2:3]
	v_readlane_b32 s2, v253, 29
	v_readlane_b32 s3, v253, 30
	v_cndmask_b32_e64 v5, 0, 1, s[0:1]
	s_nop 0
	v_cndmask_b32_e64 v0, 0, 1, s[2:3]
	v_cmp_ne_u32_e32 vcc, 0, v0
	s_nop 1
	v_xor_b32_e32 v0, vcc_hi, v17
	v_xor_b32_e32 v2, vcc_lo, v16
	v_cmp_ne_u32_e32 vcc, 0, v5
	v_and_b32_e32 v0, exec_hi, v0
	v_and_b32_e32 v2, exec_lo, v2
	v_xor_b32_e32 v5, vcc_hi, v203
	v_and_b32_e32 v0, v0, v5
	v_cndmask_b32_e64 v5, 0, 1, s[60:61]
	v_xor_b32_e32 v18, vcc_lo, v202
	v_cmp_ne_u32_e32 vcc, 0, v5
	v_and_b32_e32 v2, v2, v18
	s_nop 0
	v_xor_b32_e32 v5, vcc_hi, v205
	v_and_b32_e32 v0, v0, v5
	v_cndmask_b32_e64 v5, 0, 1, s[4:5]
	v_xor_b32_e32 v18, vcc_lo, v204
	v_cmp_ne_u32_e32 vcc, 0, v5
	v_and_b32_e32 v2, v2, v18
	s_nop 0
	;; [unrolled: 7-line block ×6, first 2 shown]
	v_xor_b32_e32 v5, vcc_hi, v215
	v_xor_b32_e32 v18, vcc_lo, v214
	v_and_b32_e32 v5, v0, v5
	v_and_b32_e32 v0, v2, v18
	v_mbcnt_lo_u32_b32 v2, v0, 0
	v_mbcnt_hi_u32_b32 v2, v5, v2
	v_cmp_eq_u32_e32 vcc, 0, v2
	s_and_saveexec_b64 s[2:3], vcc
	s_cbranch_execz .LBB5_30
; %bb.29:                               ;   in Loop: Header=BB5_2 Depth=1
	v_bcnt_u32_b32 v0, v0, 0
	v_bcnt_u32_b32 v0, v5, v0
	v_accvgpr_read_b32 v2, a19
	ds_add_u32 v2, v0
.LBB5_30:                               ;   in Loop: Header=BB5_2 Depth=1
	s_or_b64 exec, exec, s[2:3]
	v_readlane_b32 s2, v253, 31
	v_readlane_b32 s3, v253, 32
	v_cndmask_b32_e64 v5, 0, 1, s[14:15]
	s_nop 0
	v_cndmask_b32_e64 v0, 0, 1, s[2:3]
	v_cmp_ne_u32_e32 vcc, 0, v0
	s_nop 1
	v_xor_b32_e32 v0, vcc_hi, v35
	v_xor_b32_e32 v2, vcc_lo, v34
	v_cmp_ne_u32_e32 vcc, 0, v5
	v_and_b32_e32 v0, exec_hi, v0
	v_and_b32_e32 v2, exec_lo, v2
	v_xor_b32_e32 v5, vcc_hi, v217
	v_and_b32_e32 v0, v0, v5
	v_cndmask_b32_e64 v5, 0, 1, s[16:17]
	v_xor_b32_e32 v18, vcc_lo, v216
	v_cmp_ne_u32_e32 vcc, 0, v5
	v_and_b32_e32 v2, v2, v18
	s_nop 0
	v_xor_b32_e32 v5, vcc_hi, v219
	v_and_b32_e32 v0, v0, v5
	v_cndmask_b32_e64 v5, 0, 1, s[18:19]
	v_xor_b32_e32 v18, vcc_lo, v218
	v_cmp_ne_u32_e32 vcc, 0, v5
	v_and_b32_e32 v2, v2, v18
	s_nop 0
	;; [unrolled: 7-line block ×6, first 2 shown]
	v_xor_b32_e32 v5, vcc_hi, v229
	v_xor_b32_e32 v18, vcc_lo, v228
	v_and_b32_e32 v5, v0, v5
	v_and_b32_e32 v0, v2, v18
	v_mbcnt_lo_u32_b32 v2, v0, 0
	v_mbcnt_hi_u32_b32 v2, v5, v2
	v_cmp_eq_u32_e32 vcc, 0, v2
	s_and_saveexec_b64 s[2:3], vcc
	s_cbranch_execz .LBB5_32
; %bb.31:                               ;   in Loop: Header=BB5_2 Depth=1
	v_bcnt_u32_b32 v0, v0, 0
	v_bcnt_u32_b32 v0, v5, v0
	v_accvgpr_read_b32 v2, a20
	ds_add_u32 v2, v0
.LBB5_32:                               ;   in Loop: Header=BB5_2 Depth=1
	s_or_b64 exec, exec, s[2:3]
	v_readlane_b32 s2, v253, 33
	v_readlane_b32 s3, v253, 34
	v_cndmask_b32_e64 v5, 0, 1, s[28:29]
	s_nop 0
	v_cndmask_b32_e64 v0, 0, 1, s[2:3]
	v_cmp_ne_u32_e32 vcc, 0, v0
	s_nop 1
	v_xor_b32_e32 v0, vcc_hi, v37
	v_xor_b32_e32 v2, vcc_lo, v36
	v_cmp_ne_u32_e32 vcc, 0, v5
	v_and_b32_e32 v0, exec_hi, v0
	v_and_b32_e32 v2, exec_lo, v2
	v_xor_b32_e32 v5, vcc_hi, v231
	v_and_b32_e32 v0, v0, v5
	v_cndmask_b32_e64 v5, 0, 1, s[30:31]
	v_xor_b32_e32 v18, vcc_lo, v230
	v_cmp_ne_u32_e32 vcc, 0, v5
	v_and_b32_e32 v2, v2, v18
	s_nop 0
	v_xor_b32_e32 v5, vcc_hi, v233
	v_and_b32_e32 v0, v0, v5
	v_cndmask_b32_e64 v5, 0, 1, s[34:35]
	v_xor_b32_e32 v18, vcc_lo, v232
	v_cmp_ne_u32_e32 vcc, 0, v5
	v_and_b32_e32 v2, v2, v18
	s_nop 0
	;; [unrolled: 7-line block ×6, first 2 shown]
	v_xor_b32_e32 v5, vcc_hi, v243
	v_xor_b32_e32 v18, vcc_lo, v242
	v_and_b32_e32 v5, v0, v5
	v_and_b32_e32 v0, v2, v18
	v_mbcnt_lo_u32_b32 v2, v0, 0
	v_mbcnt_hi_u32_b32 v2, v5, v2
	v_cmp_eq_u32_e32 vcc, 0, v2
	s_and_saveexec_b64 s[2:3], vcc
	s_cbranch_execz .LBB5_34
; %bb.33:                               ;   in Loop: Header=BB5_2 Depth=1
	v_bcnt_u32_b32 v0, v0, 0
	v_bcnt_u32_b32 v0, v5, v0
	v_accvgpr_read_b32 v2, a21
	ds_add_u32 v2, v0
.LBB5_34:                               ;   in Loop: Header=BB5_2 Depth=1
	s_or_b64 exec, exec, s[2:3]
	v_cndmask_b32_e64 v0, 0, 1, s[58:59]
	v_cmp_ne_u32_e32 vcc, 0, v0
	v_cndmask_b32_e64 v5, 0, 1, s[44:45]
	v_accvgpr_read_b32 v4, a28
	v_xor_b32_e32 v0, vcc_hi, v245
	v_xor_b32_e32 v2, vcc_lo, v244
	v_cmp_ne_u32_e32 vcc, 0, v5
	v_and_b32_e32 v0, exec_hi, v0
	v_and_b32_e32 v2, exec_lo, v2
	v_xor_b32_e32 v5, vcc_hi, v247
	v_and_b32_e32 v0, v0, v5
	v_cndmask_b32_e64 v5, 0, 1, s[46:47]
	v_xor_b32_e32 v18, vcc_lo, v4
	v_cmp_ne_u32_e32 vcc, 0, v5
	v_and_b32_e32 v2, v2, v18
	v_accvgpr_read_b32 v4, a30
	v_xor_b32_e32 v5, vcc_hi, v249
	v_and_b32_e32 v0, v0, v5
	v_cndmask_b32_e64 v5, 0, 1, s[48:49]
	v_xor_b32_e32 v18, vcc_lo, v246
	v_cmp_ne_u32_e32 vcc, 0, v5
	v_and_b32_e32 v2, v2, v18
	s_nop 0
	v_xor_b32_e32 v5, vcc_hi, v251
	v_and_b32_e32 v0, v0, v5
	v_cndmask_b32_e64 v5, 0, 1, s[50:51]
	v_xor_b32_e32 v18, vcc_lo, v248
	v_cmp_ne_u32_e32 vcc, 0, v5
	v_and_b32_e32 v2, v2, v18
	s_nop 0
	;; [unrolled: 7-line block ×5, first 2 shown]
	v_xor_b32_e32 v5, vcc_hi, v23
	v_xor_b32_e32 v18, vcc_lo, v12
	v_and_b32_e32 v5, v0, v5
	v_and_b32_e32 v0, v2, v18
	v_mbcnt_lo_u32_b32 v2, v0, 0
	v_mbcnt_hi_u32_b32 v2, v5, v2
	v_cmp_eq_u32_e32 vcc, 0, v2
	s_and_saveexec_b64 s[2:3], vcc
	s_cbranch_execz .LBB5_1
; %bb.35:                               ;   in Loop: Header=BB5_2 Depth=1
	v_bcnt_u32_b32 v0, v0, 0
	v_bcnt_u32_b32 v0, v5, v0
	v_accvgpr_read_b32 v2, a22
	ds_add_u32 v2, v0
	s_branch .LBB5_1
.LBB5_36:
	s_and_saveexec_b64 s[0:1], s[62:63]
	s_cbranch_execz .LBB5_38
; %bb.37:
	ds_read_b32 v4, v252
	v_readlane_b32 s0, v253, 0
	v_readlane_b32 s2, v253, 2
	;; [unrolled: 1-line block ×4, first 2 shown]
	v_mov_b32_e32 v0, s2
	v_mov_b32_e32 v1, s3
	v_lshl_or_b32 v2, s0, 8, v22
	v_mov_b32_e32 v3, 0
	v_lshl_add_u64 v[0:1], v[2:3], 2, v[0:1]
	v_readlane_b32 s1, v253, 1
	s_waitcnt lgkmcnt(0)
	global_store_dword v[0:1], v4, off
.LBB5_38:
	s_endpgm
	.section	.rodata,"a",@progbits
	.p2align	6, 0x0
	.amdhsa_kernel _Z6kernelI9histogramILN6hipcub23BlockHistogramAlgorithmE0EEiLj256ELj16ELj256ELj100EEvPKT0_PS4_
		.amdhsa_group_segment_fixed_size 1024
		.amdhsa_private_segment_fixed_size 0
		.amdhsa_kernarg_size 16
		.amdhsa_user_sgpr_count 2
		.amdhsa_user_sgpr_dispatch_ptr 0
		.amdhsa_user_sgpr_queue_ptr 0
		.amdhsa_user_sgpr_kernarg_segment_ptr 1
		.amdhsa_user_sgpr_dispatch_id 0
		.amdhsa_user_sgpr_kernarg_preload_length 0
		.amdhsa_user_sgpr_kernarg_preload_offset 0
		.amdhsa_user_sgpr_private_segment_size 0
		.amdhsa_uses_dynamic_stack 0
		.amdhsa_enable_private_segment 0
		.amdhsa_system_sgpr_workgroup_id_x 1
		.amdhsa_system_sgpr_workgroup_id_y 0
		.amdhsa_system_sgpr_workgroup_id_z 0
		.amdhsa_system_sgpr_workgroup_info 0
		.amdhsa_system_vgpr_workitem_id 0
		.amdhsa_next_free_vgpr 287
		.amdhsa_next_free_sgpr 100
		.amdhsa_accum_offset 256
		.amdhsa_reserve_vcc 1
		.amdhsa_float_round_mode_32 0
		.amdhsa_float_round_mode_16_64 0
		.amdhsa_float_denorm_mode_32 3
		.amdhsa_float_denorm_mode_16_64 3
		.amdhsa_dx10_clamp 1
		.amdhsa_ieee_mode 1
		.amdhsa_fp16_overflow 0
		.amdhsa_tg_split 0
		.amdhsa_exception_fp_ieee_invalid_op 0
		.amdhsa_exception_fp_denorm_src 0
		.amdhsa_exception_fp_ieee_div_zero 0
		.amdhsa_exception_fp_ieee_overflow 0
		.amdhsa_exception_fp_ieee_underflow 0
		.amdhsa_exception_fp_ieee_inexact 0
		.amdhsa_exception_int_div_zero 0
	.end_amdhsa_kernel
	.section	.text._Z6kernelI9histogramILN6hipcub23BlockHistogramAlgorithmE0EEiLj256ELj16ELj256ELj100EEvPKT0_PS4_,"axG",@progbits,_Z6kernelI9histogramILN6hipcub23BlockHistogramAlgorithmE0EEiLj256ELj16ELj256ELj100EEvPKT0_PS4_,comdat
.Lfunc_end5:
	.size	_Z6kernelI9histogramILN6hipcub23BlockHistogramAlgorithmE0EEiLj256ELj16ELj256ELj100EEvPKT0_PS4_, .Lfunc_end5-_Z6kernelI9histogramILN6hipcub23BlockHistogramAlgorithmE0EEiLj256ELj16ELj256ELj100EEvPKT0_PS4_
                                        ; -- End function
	.section	.AMDGPU.csdata,"",@progbits
; Kernel info:
; codeLenInByte = 11656
; NumSgprs: 106
; NumVgprs: 256
; NumAgprs: 31
; TotalNumVgprs: 287
; ScratchSize: 0
; MemoryBound: 0
; FloatMode: 240
; IeeeMode: 1
; LDSByteSize: 1024 bytes/workgroup (compile time only)
; SGPRBlocks: 13
; VGPRBlocks: 35
; NumSGPRsForWavesPerEU: 106
; NumVGPRsForWavesPerEU: 287
; AccumOffset: 256
; Occupancy: 1
; WaveLimiterHint : 0
; COMPUTE_PGM_RSRC2:SCRATCH_EN: 0
; COMPUTE_PGM_RSRC2:USER_SGPR: 2
; COMPUTE_PGM_RSRC2:TRAP_HANDLER: 0
; COMPUTE_PGM_RSRC2:TGID_X_EN: 1
; COMPUTE_PGM_RSRC2:TGID_Y_EN: 0
; COMPUTE_PGM_RSRC2:TGID_Z_EN: 0
; COMPUTE_PGM_RSRC2:TIDIG_COMP_CNT: 0
; COMPUTE_PGM_RSRC3_GFX90A:ACCUM_OFFSET: 63
; COMPUTE_PGM_RSRC3_GFX90A:TG_SPLIT: 0
	.section	.text._Z6kernelI9histogramILN6hipcub23BlockHistogramAlgorithmE0EEiLj320ELj1ELj320ELj100EEvPKT0_PS4_,"axG",@progbits,_Z6kernelI9histogramILN6hipcub23BlockHistogramAlgorithmE0EEiLj320ELj1ELj320ELj100EEvPKT0_PS4_,comdat
	.protected	_Z6kernelI9histogramILN6hipcub23BlockHistogramAlgorithmE0EEiLj320ELj1ELj320ELj100EEvPKT0_PS4_ ; -- Begin function _Z6kernelI9histogramILN6hipcub23BlockHistogramAlgorithmE0EEiLj320ELj1ELj320ELj100EEvPKT0_PS4_
	.globl	_Z6kernelI9histogramILN6hipcub23BlockHistogramAlgorithmE0EEiLj320ELj1ELj320ELj100EEvPKT0_PS4_
	.p2align	8
	.type	_Z6kernelI9histogramILN6hipcub23BlockHistogramAlgorithmE0EEiLj320ELj1ELj320ELj100EEvPKT0_PS4_,@function
_Z6kernelI9histogramILN6hipcub23BlockHistogramAlgorithmE0EEiLj320ELj1ELj320ELj100EEvPKT0_PS4_: ; @_Z6kernelI9histogramILN6hipcub23BlockHistogramAlgorithmE0EEiLj320ELj1ELj320ELj100EEvPKT0_PS4_
; %bb.0:
	s_load_dwordx4 s[4:7], s[0:1], 0x0
	s_mulk_i32 s2, 0x140
	v_add_u32_e32 v2, s2, v0
	v_mov_b32_e32 v3, 0
	s_movk_i32 s0, 0x140
	s_waitcnt lgkmcnt(0)
	v_mov_b32_e32 v4, s4
	v_mov_b32_e32 v5, s5
	v_lshl_add_u64 v[4:5], v[2:3], 2, v[4:5]
	global_load_dword v1, v[4:5], off
	v_cmp_gt_u32_e32 vcc, s0, v0
	v_mov_b32_e32 v6, v3
	v_mov_b32_e32 v8, v3
	;; [unrolled: 1-line block ×9, first 2 shown]
	v_lshlrev_b32_e32 v22, 2, v0
	s_movk_i32 s4, 0x64
	s_waitcnt vmcnt(0)
	v_and_b32_e32 v4, 1, v1
	v_lshlrev_b32_e32 v7, 30, v1
	v_cmp_eq_u32_e64 s[0:1], 1, v4
	v_lshlrev_b32_e32 v9, 29, v1
	v_lshlrev_b32_e32 v11, 28, v1
	v_cndmask_b32_e64 v24, 0, 1, s[0:1]
	v_cmp_gt_i64_e64 s[0:1], 0, v[6:7]
	v_lshlrev_b32_e32 v13, 27, v1
	v_lshlrev_b32_e32 v15, 26, v1
	v_cndmask_b32_e64 v25, 0, 1, s[0:1]
	v_cmp_gt_i64_e64 s[0:1], 0, v[8:9]
	;; [unrolled: 4-line block ×4, first 2 shown]
	v_lshl_add_u64 v[0:1], v[4:5], 0, -1
	v_not_b32_e32 v5, v7
	v_cndmask_b32_e64 v28, 0, 1, s[0:1]
	v_cmp_gt_i64_e64 s[0:1], 0, v[14:15]
	v_not_b32_e32 v32, v9
	v_not_b32_e32 v33, v11
	v_cndmask_b32_e64 v29, 0, 1, s[0:1]
	v_cmp_gt_i64_e64 s[0:1], 0, v[16:17]
	v_not_b32_e32 v34, v13
	v_not_b32_e32 v35, v15
	;; [unrolled: 1-line block ×5, first 2 shown]
	v_cndmask_b32_e64 v30, 0, 1, s[0:1]
	v_cmp_gt_i64_e64 s[0:1], 0, v[18:19]
	v_ashrrev_i32_e32 v4, 31, v5
	v_ashrrev_i32_e32 v6, 31, v32
	v_cndmask_b32_e64 v31, 0, 1, s[0:1]
	v_ashrrev_i32_e32 v8, 31, v33
	v_ashrrev_i32_e32 v10, 31, v34
	;; [unrolled: 1-line block ×6, first 2 shown]
	v_cmp_gt_i64_e64 s[0:1], 0, v[20:21]
	v_mov_b32_e32 v5, v4
	v_mov_b32_e32 v7, v6
	;; [unrolled: 1-line block ×8, first 2 shown]
	v_cndmask_b32_e64 v32, 0, 1, s[0:1]
	s_branch .LBB6_2
.LBB6_1:                                ;   in Loop: Header=BB6_2 Depth=1
	s_or_b64 exec, exec, s[2:3]
	s_add_i32 s4, s4, -1
	s_cmp_lg_u32 s4, 0
	s_waitcnt lgkmcnt(0)
	s_barrier
	s_cbranch_scc0 .LBB6_6
.LBB6_2:                                ; =>This Inner Loop Header: Depth=1
	s_and_saveexec_b64 s[0:1], vcc
	s_cbranch_execz .LBB6_4
; %bb.3:                                ;   in Loop: Header=BB6_2 Depth=1
	ds_write_b32 v22, v3
.LBB6_4:                                ;   in Loop: Header=BB6_2 Depth=1
	s_or_b64 exec, exec, s[0:1]
	v_cmp_ne_u32_e64 s[0:1], 0, v24
	s_waitcnt lgkmcnt(0)
	s_barrier
	v_xor_b32_e32 v20, s1, v1
	v_xor_b32_e32 v21, s0, v0
	v_cmp_ne_u32_e64 s[0:1], 0, v25
	v_and_b32_e32 v20, exec_hi, v20
	v_and_b32_e32 v21, exec_lo, v21
	v_xor_b32_e32 v33, s1, v5
	v_xor_b32_e32 v34, s0, v4
	v_cmp_ne_u32_e64 s[0:1], 0, v26
	v_and_b32_e32 v20, v20, v33
	v_and_b32_e32 v21, v21, v34
	v_xor_b32_e32 v33, s1, v7
	v_xor_b32_e32 v34, s0, v6
	v_cmp_ne_u32_e64 s[0:1], 0, v27
	v_and_b32_e32 v20, v20, v33
	v_and_b32_e32 v21, v21, v34
	;; [unrolled: 5-line block ×7, first 2 shown]
	v_xor_b32_e32 v21, s1, v19
	v_xor_b32_e32 v34, s0, v18
	v_and_b32_e32 v21, v20, v21
	v_and_b32_e32 v20, v33, v34
	v_mbcnt_lo_u32_b32 v33, v20, 0
	v_mbcnt_hi_u32_b32 v33, v21, v33
	v_cmp_eq_u32_e64 s[0:1], 0, v33
	s_and_saveexec_b64 s[2:3], s[0:1]
	s_cbranch_execz .LBB6_1
; %bb.5:                                ;   in Loop: Header=BB6_2 Depth=1
	v_bcnt_u32_b32 v20, v20, 0
	v_bcnt_u32_b32 v20, v21, v20
	ds_add_u32 v23, v20
	s_branch .LBB6_1
.LBB6_6:
	s_and_saveexec_b64 s[0:1], vcc
	s_cbranch_execz .LBB6_8
; %bb.7:
	ds_read_b32 v4, v22
	v_mov_b32_e32 v0, s6
	v_mov_b32_e32 v1, s7
	v_lshl_add_u64 v[0:1], v[2:3], 2, v[0:1]
	s_waitcnt lgkmcnt(0)
	global_store_dword v[0:1], v4, off
.LBB6_8:
	s_endpgm
	.section	.rodata,"a",@progbits
	.p2align	6, 0x0
	.amdhsa_kernel _Z6kernelI9histogramILN6hipcub23BlockHistogramAlgorithmE0EEiLj320ELj1ELj320ELj100EEvPKT0_PS4_
		.amdhsa_group_segment_fixed_size 1280
		.amdhsa_private_segment_fixed_size 0
		.amdhsa_kernarg_size 16
		.amdhsa_user_sgpr_count 2
		.amdhsa_user_sgpr_dispatch_ptr 0
		.amdhsa_user_sgpr_queue_ptr 0
		.amdhsa_user_sgpr_kernarg_segment_ptr 1
		.amdhsa_user_sgpr_dispatch_id 0
		.amdhsa_user_sgpr_kernarg_preload_length 0
		.amdhsa_user_sgpr_kernarg_preload_offset 0
		.amdhsa_user_sgpr_private_segment_size 0
		.amdhsa_uses_dynamic_stack 0
		.amdhsa_enable_private_segment 0
		.amdhsa_system_sgpr_workgroup_id_x 1
		.amdhsa_system_sgpr_workgroup_id_y 0
		.amdhsa_system_sgpr_workgroup_id_z 0
		.amdhsa_system_sgpr_workgroup_info 0
		.amdhsa_system_vgpr_workitem_id 0
		.amdhsa_next_free_vgpr 39
		.amdhsa_next_free_sgpr 8
		.amdhsa_accum_offset 40
		.amdhsa_reserve_vcc 1
		.amdhsa_float_round_mode_32 0
		.amdhsa_float_round_mode_16_64 0
		.amdhsa_float_denorm_mode_32 3
		.amdhsa_float_denorm_mode_16_64 3
		.amdhsa_dx10_clamp 1
		.amdhsa_ieee_mode 1
		.amdhsa_fp16_overflow 0
		.amdhsa_tg_split 0
		.amdhsa_exception_fp_ieee_invalid_op 0
		.amdhsa_exception_fp_denorm_src 0
		.amdhsa_exception_fp_ieee_div_zero 0
		.amdhsa_exception_fp_ieee_overflow 0
		.amdhsa_exception_fp_ieee_underflow 0
		.amdhsa_exception_fp_ieee_inexact 0
		.amdhsa_exception_int_div_zero 0
	.end_amdhsa_kernel
	.section	.text._Z6kernelI9histogramILN6hipcub23BlockHistogramAlgorithmE0EEiLj320ELj1ELj320ELj100EEvPKT0_PS4_,"axG",@progbits,_Z6kernelI9histogramILN6hipcub23BlockHistogramAlgorithmE0EEiLj320ELj1ELj320ELj100EEvPKT0_PS4_,comdat
.Lfunc_end6:
	.size	_Z6kernelI9histogramILN6hipcub23BlockHistogramAlgorithmE0EEiLj320ELj1ELj320ELj100EEvPKT0_PS4_, .Lfunc_end6-_Z6kernelI9histogramILN6hipcub23BlockHistogramAlgorithmE0EEiLj320ELj1ELj320ELj100EEvPKT0_PS4_
                                        ; -- End function
	.section	.AMDGPU.csdata,"",@progbits
; Kernel info:
; codeLenInByte = 772
; NumSgprs: 14
; NumVgprs: 39
; NumAgprs: 0
; TotalNumVgprs: 39
; ScratchSize: 0
; MemoryBound: 0
; FloatMode: 240
; IeeeMode: 1
; LDSByteSize: 1280 bytes/workgroup (compile time only)
; SGPRBlocks: 1
; VGPRBlocks: 4
; NumSGPRsForWavesPerEU: 14
; NumVGPRsForWavesPerEU: 39
; AccumOffset: 40
; Occupancy: 8
; WaveLimiterHint : 0
; COMPUTE_PGM_RSRC2:SCRATCH_EN: 0
; COMPUTE_PGM_RSRC2:USER_SGPR: 2
; COMPUTE_PGM_RSRC2:TRAP_HANDLER: 0
; COMPUTE_PGM_RSRC2:TGID_X_EN: 1
; COMPUTE_PGM_RSRC2:TGID_Y_EN: 0
; COMPUTE_PGM_RSRC2:TGID_Z_EN: 0
; COMPUTE_PGM_RSRC2:TIDIG_COMP_CNT: 0
; COMPUTE_PGM_RSRC3_GFX90A:ACCUM_OFFSET: 9
; COMPUTE_PGM_RSRC3_GFX90A:TG_SPLIT: 0
	.section	.text._Z6kernelI9histogramILN6hipcub23BlockHistogramAlgorithmE0EEiLj320ELj2ELj320ELj100EEvPKT0_PS4_,"axG",@progbits,_Z6kernelI9histogramILN6hipcub23BlockHistogramAlgorithmE0EEiLj320ELj2ELj320ELj100EEvPKT0_PS4_,comdat
	.protected	_Z6kernelI9histogramILN6hipcub23BlockHistogramAlgorithmE0EEiLj320ELj2ELj320ELj100EEvPKT0_PS4_ ; -- Begin function _Z6kernelI9histogramILN6hipcub23BlockHistogramAlgorithmE0EEiLj320ELj2ELj320ELj100EEvPKT0_PS4_
	.globl	_Z6kernelI9histogramILN6hipcub23BlockHistogramAlgorithmE0EEiLj320ELj2ELj320ELj100EEvPKT0_PS4_
	.p2align	8
	.type	_Z6kernelI9histogramILN6hipcub23BlockHistogramAlgorithmE0EEiLj320ELj2ELj320ELj100EEvPKT0_PS4_,@function
_Z6kernelI9histogramILN6hipcub23BlockHistogramAlgorithmE0EEiLj320ELj2ELj320ELj100EEvPKT0_PS4_: ; @_Z6kernelI9histogramILN6hipcub23BlockHistogramAlgorithmE0EEiLj320ELj2ELj320ELj100EEvPKT0_PS4_
; %bb.0:
	s_load_dwordx4 s[40:43], s[0:1], 0x0
	s_mulk_i32 s2, 0x140
	v_add_u32_e32 v2, s2, v0
	v_lshlrev_b32_e32 v4, 1, v2
	v_mov_b32_e32 v5, 0
	s_waitcnt lgkmcnt(0)
	v_mov_b32_e32 v6, s40
	v_mov_b32_e32 v7, s41
	v_lshl_add_u64 v[6:7], v[4:5], 2, v[6:7]
	global_load_dwordx2 v[36:37], v[6:7], off
	v_mov_b32_e32 v10, v5
	v_mov_b32_e32 v14, v5
	;; [unrolled: 1-line block ×8, first 2 shown]
	s_movk_i32 s0, 0x140
	v_mov_b32_e32 v8, v5
	v_mov_b32_e32 v12, v5
	;; [unrolled: 1-line block ×5, first 2 shown]
	v_cmp_gt_u32_e32 vcc, s0, v0
	v_mov_b32_e32 v24, v5
	v_mov_b32_e32 v30, v5
	v_lshlrev_b32_e32 v40, 2, v0
	s_movk_i32 s33, 0x64
	s_waitcnt vmcnt(0)
	v_lshlrev_b32_e32 v11, 29, v36
	v_lshlrev_b32_e32 v15, 27, v36
	;; [unrolled: 1-line block ×6, first 2 shown]
	v_cmp_gt_i64_e64 s[4:5], 0, v[10:11]
	v_not_b32_e32 v3, v11
	v_cmp_gt_i64_e64 s[8:9], 0, v[14:15]
	v_not_b32_e32 v11, v15
	;; [unrolled: 2-line block ×4, first 2 shown]
	v_not_b32_e32 v23, v27
	v_cmp_gt_i64_e64 s[20:21], 0, v[26:27]
	v_ashrrev_i32_e32 v26, 31, v23
	v_not_b32_e32 v23, v33
	v_lshlrev_b32_e32 v35, 25, v37
	v_lshlrev_b32_e32 v29, 28, v37
	v_cmp_gt_i64_e64 s[26:27], 0, v[32:33]
	v_ashrrev_i32_e32 v32, 31, v23
	v_not_b32_e32 v23, v35
	v_lshlrev_b32_e32 v39, 24, v37
	v_and_b32_e32 v4, 1, v36
	v_lshlrev_b32_e32 v9, 30, v36
	v_lshlrev_b32_e32 v13, 28, v36
	;; [unrolled: 1-line block ×6, first 2 shown]
	v_not_b32_e32 v27, v29
	v_cmp_gt_i64_e64 s[30:31], 0, v[34:35]
	v_ashrrev_i32_e32 v34, 31, v23
	v_cmp_gt_i64_e64 s[34:35], 0, v[38:39]
	v_not_b32_e32 v23, v39
	v_lshlrev_b32_e32 v39, 23, v37
	v_lshl_add_u64 v[6:7], v[4:5], 0, -1
	v_cmp_eq_u32_e64 s[0:1], 1, v4
	v_cmp_gt_i64_e64 s[2:3], 0, v[8:9]
	v_not_b32_e32 v1, v9
	v_cmp_gt_i64_e64 s[6:7], 0, v[12:13]
	v_not_b32_e32 v9, v13
	;; [unrolled: 2-line block ×4, first 2 shown]
	v_and_b32_e32 v4, 1, v37
	v_not_b32_e32 v21, v25
	v_cmp_gt_i64_e64 s[22:23], 0, v[28:29]
	v_not_b32_e32 v29, v31
	v_ashrrev_i32_e32 v28, 31, v27
	v_not_b32_e32 v27, v39
	v_cmp_gt_i64_e64 s[18:19], 0, v[24:25]
	v_cmp_gt_i64_e64 s[24:25], 0, v[30:31]
	v_ashrrev_i32_e32 v8, 31, v1
	v_ashrrev_i32_e32 v10, 31, v3
	;; [unrolled: 1-line block ×8, first 2 shown]
	v_lshl_add_u64 v[24:25], v[4:5], 0, -1
	v_cmp_eq_u32_e64 s[28:29], 1, v4
	v_ashrrev_i32_e32 v4, 31, v21
	v_ashrrev_i32_e32 v30, 31, v29
	v_lshlrev_b32_e32 v41, 2, v36
	v_ashrrev_i32_e32 v36, 31, v23
	v_ashrrev_i32_e32 v0, 31, v27
	v_mov_b32_e32 v1, v8
	v_mov_b32_e32 v3, v10
	;; [unrolled: 1-line block ×9, first 2 shown]
	v_cmp_gt_i64_e64 s[36:37], 0, v[38:39]
	v_lshlrev_b32_e32 v42, 2, v37
	v_mov_b32_e32 v23, v26
	v_mov_b32_e32 v27, v28
	;; [unrolled: 1-line block ×7, first 2 shown]
	s_branch .LBB7_2
.LBB7_1:                                ;   in Loop: Header=BB7_2 Depth=1
	s_or_b64 exec, exec, s[40:41]
	s_add_i32 s33, s33, -1
	s_cmp_lg_u32 s33, 0
	s_waitcnt lgkmcnt(0)
	s_barrier
	s_cbranch_scc0 .LBB7_8
.LBB7_2:                                ; =>This Inner Loop Header: Depth=1
	s_and_saveexec_b64 s[38:39], vcc
	s_cbranch_execz .LBB7_4
; %bb.3:                                ;   in Loop: Header=BB7_2 Depth=1
	ds_write_b32 v40, v5
.LBB7_4:                                ;   in Loop: Header=BB7_2 Depth=1
	s_or_b64 exec, exec, s[38:39]
	v_cndmask_b32_e64 v38, 0, 1, s[0:1]
	v_cmp_ne_u32_e64 s[38:39], 0, v38
	v_cndmask_b32_e64 v43, 0, 1, s[2:3]
	s_waitcnt lgkmcnt(0)
	v_xor_b32_e32 v38, s39, v7
	v_xor_b32_e32 v39, s38, v6
	v_cmp_ne_u32_e64 s[38:39], 0, v43
	v_and_b32_e32 v38, exec_hi, v38
	v_and_b32_e32 v39, exec_lo, v39
	v_xor_b32_e32 v43, s39, v1
	v_and_b32_e32 v38, v38, v43
	v_cndmask_b32_e64 v43, 0, 1, s[4:5]
	v_xor_b32_e32 v44, s38, v8
	v_cmp_ne_u32_e64 s[38:39], 0, v43
	v_and_b32_e32 v39, v39, v44
	s_barrier
	v_xor_b32_e32 v43, s39, v3
	v_and_b32_e32 v38, v38, v43
	v_cndmask_b32_e64 v43, 0, 1, s[6:7]
	v_xor_b32_e32 v44, s38, v10
	v_cmp_ne_u32_e64 s[38:39], 0, v43
	v_and_b32_e32 v39, v39, v44
	s_nop 0
	v_xor_b32_e32 v43, s39, v9
	v_and_b32_e32 v38, v38, v43
	v_cndmask_b32_e64 v43, 0, 1, s[8:9]
	v_xor_b32_e32 v44, s38, v12
	v_cmp_ne_u32_e64 s[38:39], 0, v43
	v_and_b32_e32 v39, v39, v44
	s_nop 0
	;; [unrolled: 7-line block ×5, first 2 shown]
	v_xor_b32_e32 v43, s39, v17
	v_xor_b32_e32 v44, s38, v20
	v_and_b32_e32 v38, v38, v43
	v_and_b32_e32 v43, v39, v44
	v_cndmask_b32_e64 v39, 0, 1, s[16:17]
	v_cmp_ne_u32_e64 s[38:39], 0, v39
	s_nop 1
	v_xor_b32_e32 v39, s39, v19
	v_xor_b32_e32 v44, s38, v22
	v_and_b32_e32 v39, v38, v39
	v_and_b32_e32 v38, v43, v44
	v_mbcnt_lo_u32_b32 v43, v38, 0
	v_mbcnt_hi_u32_b32 v43, v39, v43
	v_cmp_eq_u32_e64 s[38:39], 0, v43
	s_and_saveexec_b64 s[40:41], s[38:39]
	s_cbranch_execz .LBB7_6
; %bb.5:                                ;   in Loop: Header=BB7_2 Depth=1
	v_bcnt_u32_b32 v38, v38, 0
	v_bcnt_u32_b32 v38, v39, v38
	ds_add_u32 v41, v38
.LBB7_6:                                ;   in Loop: Header=BB7_2 Depth=1
	s_or_b64 exec, exec, s[40:41]
	v_cndmask_b32_e64 v38, 0, 1, s[28:29]
	v_cmp_ne_u32_e64 s[38:39], 0, v38
	v_cndmask_b32_e64 v43, 0, 1, s[18:19]
	s_nop 0
	v_xor_b32_e32 v38, s39, v25
	v_xor_b32_e32 v39, s38, v24
	v_cmp_ne_u32_e64 s[38:39], 0, v43
	v_and_b32_e32 v38, exec_hi, v38
	v_and_b32_e32 v39, exec_lo, v39
	v_xor_b32_e32 v43, s39, v21
	v_and_b32_e32 v38, v38, v43
	v_cndmask_b32_e64 v43, 0, 1, s[20:21]
	v_xor_b32_e32 v44, s38, v4
	v_cmp_ne_u32_e64 s[38:39], 0, v43
	v_and_b32_e32 v39, v39, v44
	s_nop 0
	v_xor_b32_e32 v43, s39, v23
	v_and_b32_e32 v38, v38, v43
	v_cndmask_b32_e64 v43, 0, 1, s[22:23]
	v_xor_b32_e32 v44, s38, v26
	v_cmp_ne_u32_e64 s[38:39], 0, v43
	v_and_b32_e32 v39, v39, v44
	s_nop 0
	;; [unrolled: 7-line block ×6, first 2 shown]
	v_xor_b32_e32 v43, s39, v35
	v_xor_b32_e32 v44, s38, v36
	v_and_b32_e32 v38, v38, v43
	v_and_b32_e32 v43, v39, v44
	v_cndmask_b32_e64 v39, 0, 1, s[36:37]
	v_cmp_ne_u32_e64 s[38:39], 0, v39
	s_nop 1
	v_xor_b32_e32 v39, s39, v37
	v_xor_b32_e32 v44, s38, v0
	v_and_b32_e32 v39, v38, v39
	v_and_b32_e32 v38, v43, v44
	v_mbcnt_lo_u32_b32 v43, v38, 0
	v_mbcnt_hi_u32_b32 v43, v39, v43
	v_cmp_eq_u32_e64 s[38:39], 0, v43
	s_and_saveexec_b64 s[40:41], s[38:39]
	s_cbranch_execz .LBB7_1
; %bb.7:                                ;   in Loop: Header=BB7_2 Depth=1
	v_bcnt_u32_b32 v38, v38, 0
	v_bcnt_u32_b32 v38, v39, v38
	ds_add_u32 v42, v38
	s_branch .LBB7_1
.LBB7_8:
	s_and_saveexec_b64 s[0:1], vcc
	s_cbranch_execz .LBB7_10
; %bb.9:
	ds_read_b32 v4, v40
	v_mov_b32_e32 v0, s42
	v_mov_b32_e32 v1, s43
	;; [unrolled: 1-line block ×3, first 2 shown]
	v_lshl_add_u64 v[0:1], v[2:3], 2, v[0:1]
	s_waitcnt lgkmcnt(0)
	global_store_dword v[0:1], v4, off
.LBB7_10:
	s_endpgm
	.section	.rodata,"a",@progbits
	.p2align	6, 0x0
	.amdhsa_kernel _Z6kernelI9histogramILN6hipcub23BlockHistogramAlgorithmE0EEiLj320ELj2ELj320ELj100EEvPKT0_PS4_
		.amdhsa_group_segment_fixed_size 1280
		.amdhsa_private_segment_fixed_size 0
		.amdhsa_kernarg_size 16
		.amdhsa_user_sgpr_count 2
		.amdhsa_user_sgpr_dispatch_ptr 0
		.amdhsa_user_sgpr_queue_ptr 0
		.amdhsa_user_sgpr_kernarg_segment_ptr 1
		.amdhsa_user_sgpr_dispatch_id 0
		.amdhsa_user_sgpr_kernarg_preload_length 0
		.amdhsa_user_sgpr_kernarg_preload_offset 0
		.amdhsa_user_sgpr_private_segment_size 0
		.amdhsa_uses_dynamic_stack 0
		.amdhsa_enable_private_segment 0
		.amdhsa_system_sgpr_workgroup_id_x 1
		.amdhsa_system_sgpr_workgroup_id_y 0
		.amdhsa_system_sgpr_workgroup_id_z 0
		.amdhsa_system_sgpr_workgroup_info 0
		.amdhsa_system_vgpr_workitem_id 0
		.amdhsa_next_free_vgpr 45
		.amdhsa_next_free_sgpr 44
		.amdhsa_accum_offset 48
		.amdhsa_reserve_vcc 1
		.amdhsa_float_round_mode_32 0
		.amdhsa_float_round_mode_16_64 0
		.amdhsa_float_denorm_mode_32 3
		.amdhsa_float_denorm_mode_16_64 3
		.amdhsa_dx10_clamp 1
		.amdhsa_ieee_mode 1
		.amdhsa_fp16_overflow 0
		.amdhsa_tg_split 0
		.amdhsa_exception_fp_ieee_invalid_op 0
		.amdhsa_exception_fp_denorm_src 0
		.amdhsa_exception_fp_ieee_div_zero 0
		.amdhsa_exception_fp_ieee_overflow 0
		.amdhsa_exception_fp_ieee_underflow 0
		.amdhsa_exception_fp_ieee_inexact 0
		.amdhsa_exception_int_div_zero 0
	.end_amdhsa_kernel
	.section	.text._Z6kernelI9histogramILN6hipcub23BlockHistogramAlgorithmE0EEiLj320ELj2ELj320ELj100EEvPKT0_PS4_,"axG",@progbits,_Z6kernelI9histogramILN6hipcub23BlockHistogramAlgorithmE0EEiLj320ELj2ELj320ELj100EEvPKT0_PS4_,comdat
.Lfunc_end7:
	.size	_Z6kernelI9histogramILN6hipcub23BlockHistogramAlgorithmE0EEiLj320ELj2ELj320ELj100EEvPKT0_PS4_, .Lfunc_end7-_Z6kernelI9histogramILN6hipcub23BlockHistogramAlgorithmE0EEiLj320ELj2ELj320ELj100EEvPKT0_PS4_
                                        ; -- End function
	.section	.AMDGPU.csdata,"",@progbits
; Kernel info:
; codeLenInByte = 1424
; NumSgprs: 50
; NumVgprs: 45
; NumAgprs: 0
; TotalNumVgprs: 45
; ScratchSize: 0
; MemoryBound: 0
; FloatMode: 240
; IeeeMode: 1
; LDSByteSize: 1280 bytes/workgroup (compile time only)
; SGPRBlocks: 6
; VGPRBlocks: 5
; NumSGPRsForWavesPerEU: 50
; NumVGPRsForWavesPerEU: 45
; AccumOffset: 48
; Occupancy: 8
; WaveLimiterHint : 0
; COMPUTE_PGM_RSRC2:SCRATCH_EN: 0
; COMPUTE_PGM_RSRC2:USER_SGPR: 2
; COMPUTE_PGM_RSRC2:TRAP_HANDLER: 0
; COMPUTE_PGM_RSRC2:TGID_X_EN: 1
; COMPUTE_PGM_RSRC2:TGID_Y_EN: 0
; COMPUTE_PGM_RSRC2:TGID_Z_EN: 0
; COMPUTE_PGM_RSRC2:TIDIG_COMP_CNT: 0
; COMPUTE_PGM_RSRC3_GFX90A:ACCUM_OFFSET: 11
; COMPUTE_PGM_RSRC3_GFX90A:TG_SPLIT: 0
	.section	.text._Z6kernelI9histogramILN6hipcub23BlockHistogramAlgorithmE0EEiLj320ELj3ELj320ELj100EEvPKT0_PS4_,"axG",@progbits,_Z6kernelI9histogramILN6hipcub23BlockHistogramAlgorithmE0EEiLj320ELj3ELj320ELj100EEvPKT0_PS4_,comdat
	.protected	_Z6kernelI9histogramILN6hipcub23BlockHistogramAlgorithmE0EEiLj320ELj3ELj320ELj100EEvPKT0_PS4_ ; -- Begin function _Z6kernelI9histogramILN6hipcub23BlockHistogramAlgorithmE0EEiLj320ELj3ELj320ELj100EEvPKT0_PS4_
	.globl	_Z6kernelI9histogramILN6hipcub23BlockHistogramAlgorithmE0EEiLj320ELj3ELj320ELj100EEvPKT0_PS4_
	.p2align	8
	.type	_Z6kernelI9histogramILN6hipcub23BlockHistogramAlgorithmE0EEiLj320ELj3ELj320ELj100EEvPKT0_PS4_,@function
_Z6kernelI9histogramILN6hipcub23BlockHistogramAlgorithmE0EEiLj320ELj3ELj320ELj100EEvPKT0_PS4_: ; @_Z6kernelI9histogramILN6hipcub23BlockHistogramAlgorithmE0EEiLj320ELj3ELj320ELj100EEvPKT0_PS4_
; %bb.0:
	s_load_dwordx4 s[56:59], s[0:1], 0x0
	s_mulk_i32 s2, 0x140
	v_add_u32_e32 v2, s2, v0
	v_lshl_add_u32 v4, v2, 1, v2
	v_mov_b32_e32 v5, 0
	s_waitcnt lgkmcnt(0)
	v_lshl_add_u64 v[6:7], v[4:5], 2, s[56:57]
	global_load_dword v1, v[6:7], off
	v_mov_b32_e32 v7, v5
	v_add_u32_e32 v6, 1, v4
	v_lshl_add_u64 v[6:7], v[6:7], 2, s[56:57]
	v_add_u32_e32 v4, 2, v4
	global_load_dword v3, v[6:7], off
	v_lshl_add_u64 v[6:7], v[4:5], 2, s[56:57]
	global_load_dword v35, v[6:7], off
	v_mov_b32_e32 v8, v5
	v_mov_b32_e32 v10, v5
	;; [unrolled: 1-line block ×5, first 2 shown]
	s_movk_i32 s0, 0x140
	v_mov_b32_e32 v48, v5
	v_cmp_gt_u32_e32 vcc, s0, v0
	v_mov_b32_e32 v12, v5
	v_mov_b32_e32 v14, v5
	;; [unrolled: 1-line block ×18, first 2 shown]
	s_movk_i32 s33, 0x64
	s_waitcnt vmcnt(2)
	v_lshlrev_b32_e32 v9, 30, v1
	v_lshlrev_b32_e32 v11, 29, v1
	v_cmp_gt_i64_e64 s[2:3], 0, v[8:9]
	v_not_b32_e32 v8, v9
	v_not_b32_e32 v9, v11
	v_cmp_gt_i64_e64 s[4:5], 0, v[10:11]
	v_ashrrev_i32_e32 v10, 31, v9
	s_waitcnt vmcnt(0)
	v_lshlrev_b32_e32 v43, 30, v35
	v_not_b32_e32 v9, v43
	v_lshlrev_b32_e32 v45, 29, v35
	v_cmp_gt_i64_e64 s[40:41], 0, v[42:43]
	v_ashrrev_i32_e32 v42, 31, v9
	v_not_b32_e32 v9, v45
	v_lshlrev_b32_e32 v47, 28, v35
	v_cmp_gt_i64_e64 s[42:43], 0, v[44:45]
	v_ashrrev_i32_e32 v44, 31, v9
	v_not_b32_e32 v9, v47
	v_lshlrev_b32_e32 v49, 27, v35
	v_and_b32_e32 v4, 1, v1
	v_cmp_gt_i64_e64 s[44:45], 0, v[46:47]
	v_ashrrev_i32_e32 v46, 31, v9
	v_not_b32_e32 v9, v49
	v_lshlrev_b32_e32 v51, 26, v35
	v_lshlrev_b32_e32 v13, 28, v1
	;; [unrolled: 1-line block ×8, first 2 shown]
	v_lshl_add_u64 v[6:7], v[4:5], 0, -1
	v_cmp_eq_u32_e64 s[0:1], 1, v4
	v_and_b32_e32 v4, 1, v3
	v_lshlrev_b32_e32 v37, 25, v3
	v_cmp_gt_i64_e64 s[46:47], 0, v[48:49]
	v_ashrrev_i32_e32 v48, 31, v9
	v_not_b32_e32 v9, v51
	v_lshlrev_b32_e32 v53, 25, v35
	v_cmp_gt_i64_e64 s[6:7], 0, v[12:13]
	v_not_b32_e32 v11, v13
	v_cmp_gt_i64_e64 s[8:9], 0, v[14:15]
	v_not_b32_e32 v13, v15
	;; [unrolled: 2-line block ×7, first 2 shown]
	v_lshl_add_u64 v[24:25], v[4:5], 0, -1
	v_cmp_eq_u32_e64 s[28:29], 1, v4
	v_not_b32_e32 v4, v37
	v_lshlrev_b32_e32 v39, 24, v3
	v_cmp_gt_i64_e64 s[48:49], 0, v[50:51]
	v_ashrrev_i32_e32 v50, 31, v9
	v_not_b32_e32 v9, v53
	v_lshlrev_b32_e32 v55, 24, v35
	v_lshlrev_b32_e32 v27, 29, v3
	;; [unrolled: 1-line block ×5, first 2 shown]
	v_cmp_gt_i64_e64 s[30:31], 0, v[36:37]
	v_ashrrev_i32_e32 v36, 31, v4
	v_not_b32_e32 v4, v39
	v_lshlrev_b32_e32 v41, 23, v3
	v_cmp_gt_i64_e64 s[50:51], 0, v[52:53]
	v_ashrrev_i32_e32 v52, 31, v9
	v_not_b32_e32 v9, v55
	v_lshlrev_b32_e32 v57, 23, v35
	v_cmp_gt_i64_e64 s[20:21], 0, v[26:27]
	v_not_b32_e32 v27, v27
	v_cmp_gt_i64_e64 s[22:23], 0, v[28:29]
	v_not_b32_e32 v29, v29
	v_cmp_gt_i64_e64 s[24:25], 0, v[30:31]
	v_not_b32_e32 v31, v31
	v_cmp_gt_i64_e64 s[26:27], 0, v[32:33]
	v_not_b32_e32 v33, v33
	v_cmp_gt_i64_e64 s[34:35], 0, v[38:39]
	v_ashrrev_i32_e32 v38, 31, v4
	v_not_b32_e32 v4, v41
	v_cmp_gt_i64_e64 s[52:53], 0, v[54:55]
	v_ashrrev_i32_e32 v54, 31, v9
	v_not_b32_e32 v9, v57
	v_ashrrev_i32_e32 v8, 31, v8
	v_ashrrev_i32_e32 v12, 31, v11
	;; [unrolled: 1-line block ×12, first 2 shown]
	v_cmp_gt_i64_e64 s[36:37], 0, v[40:41]
	v_ashrrev_i32_e32 v40, 31, v4
	v_and_b32_e32 v4, 1, v35
	v_cmp_gt_i64_e64 s[54:55], 0, v[56:57]
	v_ashrrev_i32_e32 v56, 31, v9
	v_cmp_eq_u32_e64 s[38:39], 1, v4
	v_lshlrev_b32_e32 v57, 2, v0
	v_lshlrev_b32_e32 v60, 2, v1
	;; [unrolled: 1-line block ×4, first 2 shown]
	v_mov_b32_e32 v1, v8
	v_mov_b32_e32 v3, v10
	;; [unrolled: 1-line block ×16, first 2 shown]
	v_lshl_add_u64 v[58:59], v[4:5], 0, -1
	v_mov_b32_e32 v39, v42
	v_mov_b32_e32 v41, v44
	;; [unrolled: 1-line block ×8, first 2 shown]
	s_branch .LBB8_2
.LBB8_1:                                ;   in Loop: Header=BB8_2 Depth=1
	s_or_b64 exec, exec, s[60:61]
	s_add_i32 s33, s33, -1
	s_cmp_lg_u32 s33, 0
	s_waitcnt lgkmcnt(0)
	s_barrier
	s_cbranch_scc0 .LBB8_10
.LBB8_2:                                ; =>This Inner Loop Header: Depth=1
	s_and_saveexec_b64 s[56:57], vcc
	s_cbranch_execz .LBB8_4
; %bb.3:                                ;   in Loop: Header=BB8_2 Depth=1
	ds_write_b32 v57, v5
.LBB8_4:                                ;   in Loop: Header=BB8_2 Depth=1
	s_or_b64 exec, exec, s[56:57]
	v_cndmask_b32_e64 v0, 0, 1, s[0:1]
	v_cmp_ne_u32_e64 s[56:57], 0, v0
	v_cndmask_b32_e64 v55, 0, 1, s[2:3]
	s_waitcnt lgkmcnt(0)
	v_xor_b32_e32 v0, s57, v7
	v_xor_b32_e32 v4, s56, v6
	v_cmp_ne_u32_e64 s[56:57], 0, v55
	v_and_b32_e32 v0, exec_hi, v0
	v_and_b32_e32 v4, exec_lo, v4
	v_xor_b32_e32 v55, s57, v1
	v_and_b32_e32 v0, v0, v55
	v_cndmask_b32_e64 v55, 0, 1, s[4:5]
	v_xor_b32_e32 v63, s56, v8
	v_cmp_ne_u32_e64 s[56:57], 0, v55
	v_and_b32_e32 v4, v4, v63
	s_barrier
	v_xor_b32_e32 v55, s57, v3
	v_and_b32_e32 v0, v0, v55
	v_cndmask_b32_e64 v55, 0, 1, s[6:7]
	v_xor_b32_e32 v63, s56, v10
	v_cmp_ne_u32_e64 s[56:57], 0, v55
	v_and_b32_e32 v4, v4, v63
	s_nop 0
	v_xor_b32_e32 v55, s57, v9
	v_and_b32_e32 v0, v0, v55
	v_cndmask_b32_e64 v55, 0, 1, s[8:9]
	v_xor_b32_e32 v63, s56, v12
	v_cmp_ne_u32_e64 s[56:57], 0, v55
	v_and_b32_e32 v4, v4, v63
	s_nop 0
	;; [unrolled: 7-line block ×6, first 2 shown]
	v_xor_b32_e32 v55, s57, v19
	v_xor_b32_e32 v63, s56, v22
	v_and_b32_e32 v55, v0, v55
	v_and_b32_e32 v0, v4, v63
	v_mbcnt_lo_u32_b32 v4, v0, 0
	v_mbcnt_hi_u32_b32 v4, v55, v4
	v_cmp_eq_u32_e64 s[56:57], 0, v4
	s_and_saveexec_b64 s[60:61], s[56:57]
	s_cbranch_execz .LBB8_6
; %bb.5:                                ;   in Loop: Header=BB8_2 Depth=1
	v_bcnt_u32_b32 v0, v0, 0
	v_bcnt_u32_b32 v0, v55, v0
	ds_add_u32 v60, v0
.LBB8_6:                                ;   in Loop: Header=BB8_2 Depth=1
	s_or_b64 exec, exec, s[60:61]
	v_cndmask_b32_e64 v0, 0, 1, s[28:29]
	v_cmp_ne_u32_e64 s[56:57], 0, v0
	v_cndmask_b32_e64 v55, 0, 1, s[18:19]
	s_nop 0
	v_xor_b32_e32 v0, s57, v25
	v_xor_b32_e32 v4, s56, v24
	v_cmp_ne_u32_e64 s[56:57], 0, v55
	v_and_b32_e32 v0, exec_hi, v0
	v_and_b32_e32 v4, exec_lo, v4
	v_xor_b32_e32 v55, s57, v21
	v_and_b32_e32 v0, v0, v55
	v_cndmask_b32_e64 v55, 0, 1, s[20:21]
	v_xor_b32_e32 v63, s56, v26
	v_cmp_ne_u32_e64 s[56:57], 0, v55
	v_and_b32_e32 v4, v4, v63
	s_nop 0
	v_xor_b32_e32 v55, s57, v23
	v_and_b32_e32 v0, v0, v55
	v_cndmask_b32_e64 v55, 0, 1, s[22:23]
	v_xor_b32_e32 v63, s56, v28
	v_cmp_ne_u32_e64 s[56:57], 0, v55
	v_and_b32_e32 v4, v4, v63
	s_nop 0
	;; [unrolled: 7-line block ×7, first 2 shown]
	v_xor_b32_e32 v55, s57, v37
	v_xor_b32_e32 v63, s56, v40
	v_and_b32_e32 v55, v0, v55
	v_and_b32_e32 v0, v4, v63
	v_mbcnt_lo_u32_b32 v4, v0, 0
	v_mbcnt_hi_u32_b32 v4, v55, v4
	v_cmp_eq_u32_e64 s[56:57], 0, v4
	s_and_saveexec_b64 s[60:61], s[56:57]
	s_cbranch_execz .LBB8_8
; %bb.7:                                ;   in Loop: Header=BB8_2 Depth=1
	v_bcnt_u32_b32 v0, v0, 0
	v_bcnt_u32_b32 v0, v55, v0
	ds_add_u32 v61, v0
.LBB8_8:                                ;   in Loop: Header=BB8_2 Depth=1
	s_or_b64 exec, exec, s[60:61]
	v_cndmask_b32_e64 v0, 0, 1, s[38:39]
	v_cmp_ne_u32_e64 s[56:57], 0, v0
	v_cndmask_b32_e64 v55, 0, 1, s[40:41]
	s_nop 0
	v_xor_b32_e32 v0, s57, v59
	v_xor_b32_e32 v4, s56, v58
	v_cmp_ne_u32_e64 s[56:57], 0, v55
	v_and_b32_e32 v0, exec_hi, v0
	v_and_b32_e32 v4, exec_lo, v4
	v_xor_b32_e32 v55, s57, v39
	v_and_b32_e32 v0, v0, v55
	v_cndmask_b32_e64 v55, 0, 1, s[42:43]
	v_xor_b32_e32 v63, s56, v42
	v_cmp_ne_u32_e64 s[56:57], 0, v55
	v_and_b32_e32 v4, v4, v63
	s_nop 0
	v_xor_b32_e32 v55, s57, v41
	v_and_b32_e32 v0, v0, v55
	v_cndmask_b32_e64 v55, 0, 1, s[44:45]
	v_xor_b32_e32 v63, s56, v44
	v_cmp_ne_u32_e64 s[56:57], 0, v55
	v_and_b32_e32 v4, v4, v63
	s_nop 0
	;; [unrolled: 7-line block ×7, first 2 shown]
	v_xor_b32_e32 v55, s57, v53
	v_xor_b32_e32 v63, s56, v56
	v_and_b32_e32 v55, v0, v55
	v_and_b32_e32 v0, v4, v63
	v_mbcnt_lo_u32_b32 v4, v0, 0
	v_mbcnt_hi_u32_b32 v4, v55, v4
	v_cmp_eq_u32_e64 s[56:57], 0, v4
	s_and_saveexec_b64 s[60:61], s[56:57]
	s_cbranch_execz .LBB8_1
; %bb.9:                                ;   in Loop: Header=BB8_2 Depth=1
	v_bcnt_u32_b32 v0, v0, 0
	v_bcnt_u32_b32 v0, v55, v0
	ds_add_u32 v62, v0
	s_branch .LBB8_1
.LBB8_10:
	s_and_saveexec_b64 s[0:1], vcc
	s_cbranch_execz .LBB8_12
; %bb.11:
	ds_read_b32 v4, v57
	v_mov_b32_e32 v0, s58
	v_mov_b32_e32 v1, s59
	;; [unrolled: 1-line block ×3, first 2 shown]
	v_lshl_add_u64 v[0:1], v[2:3], 2, v[0:1]
	s_waitcnt lgkmcnt(0)
	global_store_dword v[0:1], v4, off
.LBB8_12:
	s_endpgm
	.section	.rodata,"a",@progbits
	.p2align	6, 0x0
	.amdhsa_kernel _Z6kernelI9histogramILN6hipcub23BlockHistogramAlgorithmE0EEiLj320ELj3ELj320ELj100EEvPKT0_PS4_
		.amdhsa_group_segment_fixed_size 1280
		.amdhsa_private_segment_fixed_size 0
		.amdhsa_kernarg_size 16
		.amdhsa_user_sgpr_count 2
		.amdhsa_user_sgpr_dispatch_ptr 0
		.amdhsa_user_sgpr_queue_ptr 0
		.amdhsa_user_sgpr_kernarg_segment_ptr 1
		.amdhsa_user_sgpr_dispatch_id 0
		.amdhsa_user_sgpr_kernarg_preload_length 0
		.amdhsa_user_sgpr_kernarg_preload_offset 0
		.amdhsa_user_sgpr_private_segment_size 0
		.amdhsa_uses_dynamic_stack 0
		.amdhsa_enable_private_segment 0
		.amdhsa_system_sgpr_workgroup_id_x 1
		.amdhsa_system_sgpr_workgroup_id_y 0
		.amdhsa_system_sgpr_workgroup_id_z 0
		.amdhsa_system_sgpr_workgroup_info 0
		.amdhsa_system_vgpr_workitem_id 0
		.amdhsa_next_free_vgpr 64
		.amdhsa_next_free_sgpr 62
		.amdhsa_accum_offset 64
		.amdhsa_reserve_vcc 1
		.amdhsa_float_round_mode_32 0
		.amdhsa_float_round_mode_16_64 0
		.amdhsa_float_denorm_mode_32 3
		.amdhsa_float_denorm_mode_16_64 3
		.amdhsa_dx10_clamp 1
		.amdhsa_ieee_mode 1
		.amdhsa_fp16_overflow 0
		.amdhsa_tg_split 0
		.amdhsa_exception_fp_ieee_invalid_op 0
		.amdhsa_exception_fp_denorm_src 0
		.amdhsa_exception_fp_ieee_div_zero 0
		.amdhsa_exception_fp_ieee_overflow 0
		.amdhsa_exception_fp_ieee_underflow 0
		.amdhsa_exception_fp_ieee_inexact 0
		.amdhsa_exception_int_div_zero 0
	.end_amdhsa_kernel
	.section	.text._Z6kernelI9histogramILN6hipcub23BlockHistogramAlgorithmE0EEiLj320ELj3ELj320ELj100EEvPKT0_PS4_,"axG",@progbits,_Z6kernelI9histogramILN6hipcub23BlockHistogramAlgorithmE0EEiLj320ELj3ELj320ELj100EEvPKT0_PS4_,comdat
.Lfunc_end8:
	.size	_Z6kernelI9histogramILN6hipcub23BlockHistogramAlgorithmE0EEiLj320ELj3ELj320ELj100EEvPKT0_PS4_, .Lfunc_end8-_Z6kernelI9histogramILN6hipcub23BlockHistogramAlgorithmE0EEiLj320ELj3ELj320ELj100EEvPKT0_PS4_
                                        ; -- End function
	.section	.AMDGPU.csdata,"",@progbits
; Kernel info:
; codeLenInByte = 2100
; NumSgprs: 68
; NumVgprs: 64
; NumAgprs: 0
; TotalNumVgprs: 64
; ScratchSize: 0
; MemoryBound: 0
; FloatMode: 240
; IeeeMode: 1
; LDSByteSize: 1280 bytes/workgroup (compile time only)
; SGPRBlocks: 8
; VGPRBlocks: 7
; NumSGPRsForWavesPerEU: 68
; NumVGPRsForWavesPerEU: 64
; AccumOffset: 64
; Occupancy: 8
; WaveLimiterHint : 0
; COMPUTE_PGM_RSRC2:SCRATCH_EN: 0
; COMPUTE_PGM_RSRC2:USER_SGPR: 2
; COMPUTE_PGM_RSRC2:TRAP_HANDLER: 0
; COMPUTE_PGM_RSRC2:TGID_X_EN: 1
; COMPUTE_PGM_RSRC2:TGID_Y_EN: 0
; COMPUTE_PGM_RSRC2:TGID_Z_EN: 0
; COMPUTE_PGM_RSRC2:TIDIG_COMP_CNT: 0
; COMPUTE_PGM_RSRC3_GFX90A:ACCUM_OFFSET: 15
; COMPUTE_PGM_RSRC3_GFX90A:TG_SPLIT: 0
	.section	.text._Z6kernelI9histogramILN6hipcub23BlockHistogramAlgorithmE0EEiLj320ELj4ELj320ELj100EEvPKT0_PS4_,"axG",@progbits,_Z6kernelI9histogramILN6hipcub23BlockHistogramAlgorithmE0EEiLj320ELj4ELj320ELj100EEvPKT0_PS4_,comdat
	.protected	_Z6kernelI9histogramILN6hipcub23BlockHistogramAlgorithmE0EEiLj320ELj4ELj320ELj100EEvPKT0_PS4_ ; -- Begin function _Z6kernelI9histogramILN6hipcub23BlockHistogramAlgorithmE0EEiLj320ELj4ELj320ELj100EEvPKT0_PS4_
	.globl	_Z6kernelI9histogramILN6hipcub23BlockHistogramAlgorithmE0EEiLj320ELj4ELj320ELj100EEvPKT0_PS4_
	.p2align	8
	.type	_Z6kernelI9histogramILN6hipcub23BlockHistogramAlgorithmE0EEiLj320ELj4ELj320ELj100EEvPKT0_PS4_,@function
_Z6kernelI9histogramILN6hipcub23BlockHistogramAlgorithmE0EEiLj320ELj4ELj320ELj100EEvPKT0_PS4_: ; @_Z6kernelI9histogramILN6hipcub23BlockHistogramAlgorithmE0EEiLj320ELj4ELj320ELj100EEvPKT0_PS4_
; %bb.0:
	s_load_dwordx4 s[76:79], s[0:1], 0x0
	s_mulk_i32 s2, 0x140
	v_add_u32_e32 v6, s2, v0
	v_lshlrev_b32_e32 v8, 2, v6
	v_mov_b32_e32 v9, 0
	s_waitcnt lgkmcnt(0)
	v_mov_b32_e32 v2, s76
	v_mov_b32_e32 v3, s77
	v_lshl_add_u64 v[2:3], v[8:9], 2, v[2:3]
	global_load_dwordx4 v[2:5], v[2:3], off
	v_mov_b32_e32 v12, v9
	v_mov_b32_e32 v14, v9
	v_mov_b32_e32 v16, v9
	v_mov_b32_e32 v18, v9
	v_mov_b32_e32 v20, v9
	v_mov_b32_e32 v22, v9
	v_mov_b32_e32 v24, v9
	v_mov_b32_e32 v26, v9
	v_mov_b32_e32 v28, v9
	v_mov_b32_e32 v30, v9
	v_mov_b32_e32 v32, v9
	v_mov_b32_e32 v34, v9
	v_mov_b32_e32 v36, v9
	v_mov_b32_e32 v38, v9
	v_mov_b32_e32 v40, v9
	v_mov_b32_e32 v42, v9
	v_mov_b32_e32 v44, v9
	v_mov_b32_e32 v46, v9
	v_mov_b32_e32 v48, v9
	s_movk_i32 s33, 0x140
	v_mov_b32_e32 v50, v9
	v_mov_b32_e32 v52, v9
	;; [unrolled: 1-line block ×12, first 2 shown]
	v_cmp_gt_u32_e64 s[44:45], s33, v0
	v_mov_b32_e32 v74, v9
	v_lshlrev_b32_e32 v80, 2, v0
	s_movk_i32 s33, 0x64
	s_waitcnt vmcnt(0)
	v_and_b32_e32 v8, 1, v2
	v_lshl_add_u64 v[10:11], v[8:9], 0, -1
	v_cmp_eq_u32_e32 vcc, 1, v8
	v_and_b32_e32 v8, 1, v3
	v_lshlrev_b32_e32 v13, 30, v2
	v_lshlrev_b32_e32 v15, 29, v2
	v_lshlrev_b32_e32 v17, 28, v2
	v_lshlrev_b32_e32 v19, 27, v2
	v_lshlrev_b32_e32 v21, 26, v2
	v_lshlrev_b32_e32 v23, 25, v2
	v_lshlrev_b32_e32 v25, 24, v2
	v_lshlrev_b32_e32 v27, 23, v2
	v_lshlrev_b32_e32 v29, 30, v3
	v_lshlrev_b32_e32 v31, 29, v3
	v_lshlrev_b32_e32 v33, 28, v3
	v_lshlrev_b32_e32 v35, 27, v3
	v_lshlrev_b32_e32 v37, 26, v3
	v_lshlrev_b32_e32 v39, 25, v3
	v_lshlrev_b32_e32 v41, 24, v3
	v_lshlrev_b32_e32 v43, 23, v3
	v_lshlrev_b32_e32 v76, 2, v2
	v_lshlrev_b32_e32 v77, 2, v3
	v_lshl_add_u64 v[2:3], v[8:9], 0, -1
	v_cmp_eq_u32_e64 s[22:23], 1, v8
	v_and_b32_e32 v8, 1, v4
	v_lshlrev_b32_e32 v45, 30, v4
	v_lshlrev_b32_e32 v47, 29, v4
	;; [unrolled: 1-line block ×17, first 2 shown]
	v_cmp_gt_i64_e64 s[0:1], 0, v[12:13]
	v_not_b32_e32 v1, v13
	v_cmp_gt_i64_e64 s[2:3], 0, v[14:15]
	v_not_b32_e32 v7, v15
	;; [unrolled: 2-line block ×10, first 2 shown]
	v_not_b32_e32 v31, v33
	v_lshl_add_u64 v[12:13], v[8:9], 0, -1
	v_cmp_eq_u32_e64 s[24:25], 1, v8
	v_and_b32_e32 v8, 1, v5
	v_not_b32_e32 v5, v35
	v_lshlrev_b32_e32 v78, 2, v4
	v_cmp_gt_i64_e64 s[20:21], 0, v[32:33]
	v_cmp_gt_i64_e64 s[26:27], 0, v[34:35]
	;; [unrolled: 1-line block ×3, first 2 shown]
	v_not_b32_e32 v33, v37
	v_cmp_gt_i64_e64 s[30:31], 0, v[38:39]
	v_not_b32_e32 v35, v39
	v_cmp_gt_i64_e64 s[34:35], 0, v[40:41]
	;; [unrolled: 2-line block ×5, first 2 shown]
	v_not_b32_e32 v43, v47
	v_not_b32_e32 v45, v49
	;; [unrolled: 1-line block ×3, first 2 shown]
	v_ashrrev_i32_e32 v4, 31, v1
	v_not_b32_e32 v1, v53
	v_ashrrev_i32_e32 v14, 31, v7
	v_not_b32_e32 v7, v55
	;; [unrolled: 2-line block ×12, first 2 shown]
	v_cmp_gt_i64_e64 s[42:43], 0, v[48:49]
	v_cmp_gt_i64_e64 s[46:47], 0, v[50:51]
	;; [unrolled: 1-line block ×13, first 2 shown]
	v_ashrrev_i32_e32 v36, 31, v33
	v_ashrrev_i32_e32 v38, 31, v35
	;; [unrolled: 1-line block ×20, first 2 shown]
	v_cmp_gt_i64_e64 s[70:71], 0, v[74:75]
	v_cmp_eq_u32_e64 s[72:73], 1, v8
	v_mov_b32_e32 v1, v4
	v_mov_b32_e32 v5, v14
	;; [unrolled: 1-line block ×24, first 2 shown]
	v_lshl_add_u64 v[74:75], v[8:9], 0, -1
	v_mov_b32_e32 v57, v58
	v_mov_b32_e32 v59, v60
	;; [unrolled: 1-line block ×8, first 2 shown]
	s_branch .LBB9_2
.LBB9_1:                                ;   in Loop: Header=BB9_2 Depth=1
	s_or_b64 exec, exec, s[76:77]
	s_add_i32 s33, s33, -1
	s_cmp_lg_u32 s33, 0
	s_waitcnt lgkmcnt(0)
	s_barrier
	s_cbranch_scc0 .LBB9_12
.LBB9_2:                                ; =>This Inner Loop Header: Depth=1
	s_and_saveexec_b64 s[74:75], s[44:45]
	s_cbranch_execz .LBB9_4
; %bb.3:                                ;   in Loop: Header=BB9_2 Depth=1
	ds_write_b32 v80, v9
.LBB9_4:                                ;   in Loop: Header=BB9_2 Depth=1
	s_or_b64 exec, exec, s[74:75]
	v_cndmask_b32_e64 v8, 0, 1, vcc
	v_cmp_ne_u32_e64 s[74:75], 0, v8
	v_cndmask_b32_e64 v81, 0, 1, s[0:1]
	s_waitcnt lgkmcnt(0)
	v_xor_b32_e32 v8, s75, v11
	v_xor_b32_e32 v73, s74, v10
	v_cmp_ne_u32_e64 s[74:75], 0, v81
	v_and_b32_e32 v8, exec_hi, v8
	v_and_b32_e32 v73, exec_lo, v73
	v_xor_b32_e32 v81, s75, v1
	v_and_b32_e32 v8, v8, v81
	v_cndmask_b32_e64 v81, 0, 1, s[2:3]
	v_xor_b32_e32 v82, s74, v4
	v_cmp_ne_u32_e64 s[74:75], 0, v81
	v_and_b32_e32 v73, v73, v82
	s_barrier
	v_xor_b32_e32 v81, s75, v5
	v_and_b32_e32 v8, v8, v81
	v_cndmask_b32_e64 v81, 0, 1, s[4:5]
	v_xor_b32_e32 v82, s74, v14
	v_cmp_ne_u32_e64 s[74:75], 0, v81
	v_and_b32_e32 v73, v73, v82
	s_nop 0
	v_xor_b32_e32 v81, s75, v7
	v_and_b32_e32 v8, v8, v81
	v_cndmask_b32_e64 v81, 0, 1, s[6:7]
	v_xor_b32_e32 v82, s74, v16
	v_cmp_ne_u32_e64 s[74:75], 0, v81
	v_and_b32_e32 v73, v73, v82
	s_nop 0
	;; [unrolled: 7-line block ×5, first 2 shown]
	v_xor_b32_e32 v81, s75, v21
	v_xor_b32_e32 v82, s74, v24
	v_and_b32_e32 v8, v8, v81
	v_and_b32_e32 v81, v73, v82
	v_cndmask_b32_e64 v73, 0, 1, s[14:15]
	v_cmp_ne_u32_e64 s[74:75], 0, v73
	s_nop 1
	v_xor_b32_e32 v73, s75, v23
	v_xor_b32_e32 v82, s74, v26
	v_and_b32_e32 v73, v8, v73
	v_and_b32_e32 v8, v81, v82
	v_mbcnt_lo_u32_b32 v81, v8, 0
	v_mbcnt_hi_u32_b32 v81, v73, v81
	v_cmp_eq_u32_e64 s[74:75], 0, v81
	s_and_saveexec_b64 s[76:77], s[74:75]
	s_cbranch_execz .LBB9_6
; %bb.5:                                ;   in Loop: Header=BB9_2 Depth=1
	v_bcnt_u32_b32 v8, v8, 0
	v_bcnt_u32_b32 v8, v73, v8
	ds_add_u32 v76, v8
.LBB9_6:                                ;   in Loop: Header=BB9_2 Depth=1
	s_or_b64 exec, exec, s[76:77]
	v_cndmask_b32_e64 v8, 0, 1, s[22:23]
	v_cmp_ne_u32_e64 s[74:75], 0, v8
	v_cndmask_b32_e64 v81, 0, 1, s[16:17]
	s_nop 0
	v_xor_b32_e32 v8, s75, v3
	v_xor_b32_e32 v73, s74, v2
	v_cmp_ne_u32_e64 s[74:75], 0, v81
	v_and_b32_e32 v8, exec_hi, v8
	v_and_b32_e32 v73, exec_lo, v73
	v_xor_b32_e32 v81, s75, v25
	v_and_b32_e32 v8, v8, v81
	v_cndmask_b32_e64 v81, 0, 1, s[18:19]
	v_xor_b32_e32 v82, s74, v28
	v_cmp_ne_u32_e64 s[74:75], 0, v81
	v_and_b32_e32 v73, v73, v82
	s_nop 0
	v_xor_b32_e32 v81, s75, v27
	v_and_b32_e32 v8, v8, v81
	v_cndmask_b32_e64 v81, 0, 1, s[20:21]
	v_xor_b32_e32 v82, s74, v30
	v_cmp_ne_u32_e64 s[74:75], 0, v81
	v_and_b32_e32 v73, v73, v82
	s_nop 0
	;; [unrolled: 7-line block ×6, first 2 shown]
	v_xor_b32_e32 v81, s75, v37
	v_xor_b32_e32 v82, s74, v40
	v_and_b32_e32 v8, v8, v81
	v_and_b32_e32 v81, v73, v82
	v_cndmask_b32_e64 v73, 0, 1, s[36:37]
	v_cmp_ne_u32_e64 s[74:75], 0, v73
	s_nop 1
	v_xor_b32_e32 v73, s75, v39
	v_xor_b32_e32 v82, s74, v0
	v_and_b32_e32 v73, v8, v73
	v_and_b32_e32 v8, v81, v82
	v_mbcnt_lo_u32_b32 v81, v8, 0
	v_mbcnt_hi_u32_b32 v81, v73, v81
	v_cmp_eq_u32_e64 s[74:75], 0, v81
	s_and_saveexec_b64 s[76:77], s[74:75]
	s_cbranch_execz .LBB9_8
; %bb.7:                                ;   in Loop: Header=BB9_2 Depth=1
	v_bcnt_u32_b32 v8, v8, 0
	v_bcnt_u32_b32 v8, v73, v8
	ds_add_u32 v77, v8
.LBB9_8:                                ;   in Loop: Header=BB9_2 Depth=1
	s_or_b64 exec, exec, s[76:77]
	v_cndmask_b32_e64 v8, 0, 1, s[24:25]
	v_cmp_ne_u32_e64 s[74:75], 0, v8
	v_cndmask_b32_e64 v81, 0, 1, s[38:39]
	s_nop 0
	v_xor_b32_e32 v8, s75, v13
	v_xor_b32_e32 v73, s74, v12
	v_cmp_ne_u32_e64 s[74:75], 0, v81
	v_and_b32_e32 v8, exec_hi, v8
	v_and_b32_e32 v73, exec_lo, v73
	v_xor_b32_e32 v81, s75, v41
	v_and_b32_e32 v8, v8, v81
	v_cndmask_b32_e64 v81, 0, 1, s[40:41]
	v_xor_b32_e32 v82, s74, v42
	v_cmp_ne_u32_e64 s[74:75], 0, v81
	v_and_b32_e32 v73, v73, v82
	s_nop 0
	v_xor_b32_e32 v81, s75, v43
	v_and_b32_e32 v8, v8, v81
	v_cndmask_b32_e64 v81, 0, 1, s[42:43]
	v_xor_b32_e32 v82, s74, v44
	v_cmp_ne_u32_e64 s[74:75], 0, v81
	v_and_b32_e32 v73, v73, v82
	s_nop 0
	v_xor_b32_e32 v81, s75, v45
	v_and_b32_e32 v8, v8, v81
	v_cndmask_b32_e64 v81, 0, 1, s[46:47]
	v_xor_b32_e32 v82, s74, v46
	v_cmp_ne_u32_e64 s[74:75], 0, v81
	v_and_b32_e32 v73, v73, v82
	s_nop 0
	v_xor_b32_e32 v81, s75, v47
	v_and_b32_e32 v8, v8, v81
	v_cndmask_b32_e64 v81, 0, 1, s[48:49]
	v_xor_b32_e32 v82, s74, v48
	v_cmp_ne_u32_e64 s[74:75], 0, v81
	v_and_b32_e32 v73, v73, v82
	s_nop 0
	v_xor_b32_e32 v81, s75, v49
	v_and_b32_e32 v8, v8, v81
	v_cndmask_b32_e64 v81, 0, 1, s[50:51]
	v_xor_b32_e32 v82, s74, v50
	v_cmp_ne_u32_e64 s[74:75], 0, v81
	v_and_b32_e32 v73, v73, v82
	s_nop 0
	v_xor_b32_e32 v81, s75, v51
	v_and_b32_e32 v8, v8, v81
	v_cndmask_b32_e64 v81, 0, 1, s[52:53]
	v_xor_b32_e32 v82, s74, v52
	v_cmp_ne_u32_e64 s[74:75], 0, v81
	v_and_b32_e32 v73, v73, v82
	s_nop 0
	v_xor_b32_e32 v81, s75, v53
	v_xor_b32_e32 v82, s74, v54
	v_and_b32_e32 v8, v8, v81
	v_and_b32_e32 v81, v73, v82
	v_cndmask_b32_e64 v73, 0, 1, s[54:55]
	v_cmp_ne_u32_e64 s[74:75], 0, v73
	s_nop 1
	v_xor_b32_e32 v73, s75, v55
	v_xor_b32_e32 v82, s74, v56
	v_and_b32_e32 v73, v8, v73
	v_and_b32_e32 v8, v81, v82
	v_mbcnt_lo_u32_b32 v81, v8, 0
	v_mbcnt_hi_u32_b32 v81, v73, v81
	v_cmp_eq_u32_e64 s[74:75], 0, v81
	s_and_saveexec_b64 s[76:77], s[74:75]
	s_cbranch_execz .LBB9_10
; %bb.9:                                ;   in Loop: Header=BB9_2 Depth=1
	v_bcnt_u32_b32 v8, v8, 0
	v_bcnt_u32_b32 v8, v73, v8
	ds_add_u32 v78, v8
.LBB9_10:                               ;   in Loop: Header=BB9_2 Depth=1
	s_or_b64 exec, exec, s[76:77]
	v_cndmask_b32_e64 v8, 0, 1, s[72:73]
	v_cmp_ne_u32_e64 s[74:75], 0, v8
	v_cndmask_b32_e64 v81, 0, 1, s[56:57]
	s_nop 0
	v_xor_b32_e32 v8, s75, v75
	v_xor_b32_e32 v73, s74, v74
	v_cmp_ne_u32_e64 s[74:75], 0, v81
	v_and_b32_e32 v8, exec_hi, v8
	v_and_b32_e32 v73, exec_lo, v73
	v_xor_b32_e32 v81, s75, v57
	v_and_b32_e32 v8, v8, v81
	v_cndmask_b32_e64 v81, 0, 1, s[58:59]
	v_xor_b32_e32 v82, s74, v58
	v_cmp_ne_u32_e64 s[74:75], 0, v81
	v_and_b32_e32 v73, v73, v82
	s_nop 0
	v_xor_b32_e32 v81, s75, v59
	v_and_b32_e32 v8, v8, v81
	v_cndmask_b32_e64 v81, 0, 1, s[60:61]
	v_xor_b32_e32 v82, s74, v60
	v_cmp_ne_u32_e64 s[74:75], 0, v81
	v_and_b32_e32 v73, v73, v82
	s_nop 0
	;; [unrolled: 7-line block ×6, first 2 shown]
	v_xor_b32_e32 v81, s75, v69
	v_xor_b32_e32 v82, s74, v70
	v_and_b32_e32 v8, v8, v81
	v_and_b32_e32 v81, v73, v82
	v_cndmask_b32_e64 v73, 0, 1, s[70:71]
	v_cmp_ne_u32_e64 s[74:75], 0, v73
	s_nop 1
	v_xor_b32_e32 v73, s75, v71
	v_xor_b32_e32 v82, s74, v72
	v_and_b32_e32 v73, v8, v73
	v_and_b32_e32 v8, v81, v82
	v_mbcnt_lo_u32_b32 v81, v8, 0
	v_mbcnt_hi_u32_b32 v81, v73, v81
	v_cmp_eq_u32_e64 s[74:75], 0, v81
	s_and_saveexec_b64 s[76:77], s[74:75]
	s_cbranch_execz .LBB9_1
; %bb.11:                               ;   in Loop: Header=BB9_2 Depth=1
	v_bcnt_u32_b32 v8, v8, 0
	v_bcnt_u32_b32 v8, v73, v8
	ds_add_u32 v79, v8
	s_branch .LBB9_1
.LBB9_12:
	s_and_saveexec_b64 s[0:1], s[44:45]
	s_cbranch_execz .LBB9_14
; %bb.13:
	ds_read_b32 v2, v80
	v_mov_b32_e32 v0, s78
	v_mov_b32_e32 v1, s79
	v_mov_b32_e32 v7, 0
	v_lshl_add_u64 v[0:1], v[6:7], 2, v[0:1]
	s_waitcnt lgkmcnt(0)
	global_store_dword v[0:1], v2, off
.LBB9_14:
	s_endpgm
	.section	.rodata,"a",@progbits
	.p2align	6, 0x0
	.amdhsa_kernel _Z6kernelI9histogramILN6hipcub23BlockHistogramAlgorithmE0EEiLj320ELj4ELj320ELj100EEvPKT0_PS4_
		.amdhsa_group_segment_fixed_size 1280
		.amdhsa_private_segment_fixed_size 0
		.amdhsa_kernarg_size 16
		.amdhsa_user_sgpr_count 2
		.amdhsa_user_sgpr_dispatch_ptr 0
		.amdhsa_user_sgpr_queue_ptr 0
		.amdhsa_user_sgpr_kernarg_segment_ptr 1
		.amdhsa_user_sgpr_dispatch_id 0
		.amdhsa_user_sgpr_kernarg_preload_length 0
		.amdhsa_user_sgpr_kernarg_preload_offset 0
		.amdhsa_user_sgpr_private_segment_size 0
		.amdhsa_uses_dynamic_stack 0
		.amdhsa_enable_private_segment 0
		.amdhsa_system_sgpr_workgroup_id_x 1
		.amdhsa_system_sgpr_workgroup_id_y 0
		.amdhsa_system_sgpr_workgroup_id_z 0
		.amdhsa_system_sgpr_workgroup_info 0
		.amdhsa_system_vgpr_workitem_id 0
		.amdhsa_next_free_vgpr 83
		.amdhsa_next_free_sgpr 80
		.amdhsa_accum_offset 84
		.amdhsa_reserve_vcc 1
		.amdhsa_float_round_mode_32 0
		.amdhsa_float_round_mode_16_64 0
		.amdhsa_float_denorm_mode_32 3
		.amdhsa_float_denorm_mode_16_64 3
		.amdhsa_dx10_clamp 1
		.amdhsa_ieee_mode 1
		.amdhsa_fp16_overflow 0
		.amdhsa_tg_split 0
		.amdhsa_exception_fp_ieee_invalid_op 0
		.amdhsa_exception_fp_denorm_src 0
		.amdhsa_exception_fp_ieee_div_zero 0
		.amdhsa_exception_fp_ieee_overflow 0
		.amdhsa_exception_fp_ieee_underflow 0
		.amdhsa_exception_fp_ieee_inexact 0
		.amdhsa_exception_int_div_zero 0
	.end_amdhsa_kernel
	.section	.text._Z6kernelI9histogramILN6hipcub23BlockHistogramAlgorithmE0EEiLj320ELj4ELj320ELj100EEvPKT0_PS4_,"axG",@progbits,_Z6kernelI9histogramILN6hipcub23BlockHistogramAlgorithmE0EEiLj320ELj4ELj320ELj100EEvPKT0_PS4_,comdat
.Lfunc_end9:
	.size	_Z6kernelI9histogramILN6hipcub23BlockHistogramAlgorithmE0EEiLj320ELj4ELj320ELj100EEvPKT0_PS4_, .Lfunc_end9-_Z6kernelI9histogramILN6hipcub23BlockHistogramAlgorithmE0EEiLj320ELj4ELj320ELj100EEvPKT0_PS4_
                                        ; -- End function
	.section	.AMDGPU.csdata,"",@progbits
; Kernel info:
; codeLenInByte = 2684
; NumSgprs: 86
; NumVgprs: 83
; NumAgprs: 0
; TotalNumVgprs: 83
; ScratchSize: 0
; MemoryBound: 0
; FloatMode: 240
; IeeeMode: 1
; LDSByteSize: 1280 bytes/workgroup (compile time only)
; SGPRBlocks: 10
; VGPRBlocks: 10
; NumSGPRsForWavesPerEU: 86
; NumVGPRsForWavesPerEU: 83
; AccumOffset: 84
; Occupancy: 5
; WaveLimiterHint : 0
; COMPUTE_PGM_RSRC2:SCRATCH_EN: 0
; COMPUTE_PGM_RSRC2:USER_SGPR: 2
; COMPUTE_PGM_RSRC2:TRAP_HANDLER: 0
; COMPUTE_PGM_RSRC2:TGID_X_EN: 1
; COMPUTE_PGM_RSRC2:TGID_Y_EN: 0
; COMPUTE_PGM_RSRC2:TGID_Z_EN: 0
; COMPUTE_PGM_RSRC2:TIDIG_COMP_CNT: 0
; COMPUTE_PGM_RSRC3_GFX90A:ACCUM_OFFSET: 20
; COMPUTE_PGM_RSRC3_GFX90A:TG_SPLIT: 0
	.section	.text._Z6kernelI9histogramILN6hipcub23BlockHistogramAlgorithmE0EEiLj320ELj8ELj320ELj100EEvPKT0_PS4_,"axG",@progbits,_Z6kernelI9histogramILN6hipcub23BlockHistogramAlgorithmE0EEiLj320ELj8ELj320ELj100EEvPKT0_PS4_,comdat
	.protected	_Z6kernelI9histogramILN6hipcub23BlockHistogramAlgorithmE0EEiLj320ELj8ELj320ELj100EEvPKT0_PS4_ ; -- Begin function _Z6kernelI9histogramILN6hipcub23BlockHistogramAlgorithmE0EEiLj320ELj8ELj320ELj100EEvPKT0_PS4_
	.globl	_Z6kernelI9histogramILN6hipcub23BlockHistogramAlgorithmE0EEiLj320ELj8ELj320ELj100EEvPKT0_PS4_
	.p2align	8
	.type	_Z6kernelI9histogramILN6hipcub23BlockHistogramAlgorithmE0EEiLj320ELj8ELj320ELj100EEvPKT0_PS4_,@function
_Z6kernelI9histogramILN6hipcub23BlockHistogramAlgorithmE0EEiLj320ELj8ELj320ELj100EEvPKT0_PS4_: ; @_Z6kernelI9histogramILN6hipcub23BlockHistogramAlgorithmE0EEiLj320ELj8ELj320ELj100EEvPKT0_PS4_
; %bb.0:
	s_load_dwordx4 s[4:7], s[0:1], 0x0
	s_mulk_i32 s2, 0x140
                                        ; implicit-def: $vgpr209 : SGPR spill to VGPR lane
	v_add_u32_e32 v6, s2, v0
	v_lshlrev_b32_e32 v8, 3, v6
	v_mov_b32_e32 v9, 0
	s_waitcnt lgkmcnt(0)
	v_mov_b32_e32 v2, s4
	v_writelane_b32 v209, s4, 0
	v_mov_b32_e32 v22, v9
	v_mov_b32_e32 v24, v9
	;; [unrolled: 1-line block ×3, first 2 shown]
	v_lshl_add_u64 v[10:11], v[8:9], 2, v[2:3]
	global_load_dwordx4 v[2:5], v[10:11], off
	global_load_dwordx4 v[18:21], v[10:11], off offset:16
	v_writelane_b32 v209, s5, 1
	v_writelane_b32 v209, s6, 2
	;; [unrolled: 1-line block ×3, first 2 shown]
	v_mov_b32_e32 v26, v9
	v_mov_b32_e32 v28, v9
	;; [unrolled: 1-line block ×16, first 2 shown]
	v_lshlrev_b32_e32 v208, 2, v0
	v_mov_b32_e32 v94, v9
	v_mov_b32_e32 v96, v9
	;; [unrolled: 1-line block ×46, first 2 shown]
	s_movk_i32 s33, 0x64
	s_waitcnt vmcnt(1)
	v_and_b32_e32 v8, 1, v2
	v_cmp_eq_u32_e64 s[0:1], 1, v8
	v_lshl_add_u64 v[10:11], v[8:9], 0, -1
	v_and_b32_e32 v8, 1, v3
	v_writelane_b32 v209, s0, 4
	v_lshlrev_b32_e32 v23, 30, v2
	v_lshlrev_b32_e32 v25, 29, v2
	v_writelane_b32 v209, s1, 5
	v_cmp_eq_u32_e64 s[0:1], 1, v8
	v_lshlrev_b32_e32 v27, 28, v2
	v_lshlrev_b32_e32 v29, 27, v2
	;; [unrolled: 1-line block ×16, first 2 shown]
	v_lshl_add_u64 v[2:3], v[8:9], 0, -1
	v_writelane_b32 v209, s0, 6
	v_and_b32_e32 v8, 1, v4
	v_lshl_add_u64 v[12:13], v[8:9], 0, -1
	v_writelane_b32 v209, s1, 7
	v_cmp_eq_u32_e64 s[0:1], 1, v8
	v_and_b32_e32 v8, 1, v5
	v_lshlrev_b32_e32 v55, 30, v4
	v_writelane_b32 v209, s0, 8
	v_lshlrev_b32_e32 v57, 29, v4
	v_lshlrev_b32_e32 v59, 28, v4
	v_writelane_b32 v209, s1, 9
	v_cmp_eq_u32_e64 s[0:1], 1, v8
	v_lshlrev_b32_e32 v61, 27, v4
	v_lshlrev_b32_e32 v202, 2, v4
	;; [unrolled: 1-line block ×15, first 2 shown]
	v_writelane_b32 v209, s0, 10
	v_lshl_add_u64 v[4:5], v[8:9], 0, -1
	s_waitcnt vmcnt(0)
	v_and_b32_e32 v8, 1, v18
	v_writelane_b32 v209, s1, 11
	v_cmp_eq_u32_e64 s[0:1], 1, v8
	v_lshl_add_u64 v[14:15], v[8:9], 0, -1
	v_and_b32_e32 v8, 1, v19
	v_writelane_b32 v209, s0, 12
	v_lshl_add_u64 v[16:17], v[8:9], 0, -1
	v_lshlrev_b32_e32 v191, 25, v18
	v_writelane_b32 v209, s1, 13
	v_cmp_eq_u32_e64 s[0:1], 1, v8
	v_and_b32_e32 v8, 1, v20
	v_not_b32_e32 v1, v23
	v_writelane_b32 v209, s0, 14
	v_lshlrev_b32_e32 v185, 24, v18
	v_lshlrev_b32_e32 v95, 28, v18
	v_writelane_b32 v209, s1, 15
	v_cmp_eq_u32_e64 s[0:1], 1, v8
	v_lshlrev_b32_e32 v179, 23, v18
	v_lshlrev_b32_e32 v97, 27, v18
	v_writelane_b32 v209, s0, 16
	v_lshlrev_b32_e32 v173, 30, v19
	v_cmp_gt_i64_e64 s[84:85], 0, v[94:95]
	v_writelane_b32 v209, s1, 17
	v_cmp_gt_i64_e64 s[0:1], 0, v[22:23]
	v_lshlrev_b32_e32 v99, 26, v18
	v_lshlrev_b32_e32 v167, 29, v19
	v_writelane_b32 v209, s0, 18
	v_cmp_gt_i64_e64 s[86:87], 0, v[96:97]
	v_lshlrev_b32_e32 v161, 28, v19
	v_writelane_b32 v209, s1, 19
	v_cmp_gt_i64_e64 s[0:1], 0, v[24:25]
	v_cmp_gt_i64_e64 s[88:89], 0, v[98:99]
	v_lshlrev_b32_e32 v195, 27, v19
	v_writelane_b32 v209, s0, 20
	v_lshlrev_b32_e32 v189, 26, v19
	v_lshlrev_b32_e32 v183, 25, v19
	v_writelane_b32 v209, s1, 21
	v_cmp_gt_i64_e64 s[0:1], 0, v[26:27]
	v_lshlrev_b32_e32 v177, 24, v19
	v_lshlrev_b32_e32 v171, 23, v19
	v_writelane_b32 v209, s0, 22
	v_lshlrev_b32_e32 v165, 30, v20
	v_lshlrev_b32_e32 v159, 29, v20
	v_writelane_b32 v209, s1, 23
	v_cmp_gt_i64_e64 s[0:1], 0, v[28:29]
	v_lshlrev_b32_e32 v155, 28, v20
	;; [unrolled: 7-line block ×6, first 2 shown]
	v_lshlrev_b32_e32 v205, 2, v19
	v_writelane_b32 v209, s0, 32
	v_lshlrev_b32_e32 v207, 2, v21
	v_lshl_add_u64 v[18:19], v[8:9], 0, -1
	v_writelane_b32 v209, s1, 33
	v_cmp_gt_i64_e64 s[0:1], 0, v[38:39]
	v_and_b32_e32 v8, 1, v21
	v_not_b32_e32 v7, v25
	v_writelane_b32 v209, s0, 34
	v_not_b32_e32 v21, v27
	v_not_b32_e32 v23, v29
	v_writelane_b32 v209, s1, 35
	v_cmp_gt_i64_e64 s[0:1], 0, v[40:41]
	v_not_b32_e32 v25, v31
	v_not_b32_e32 v27, v33
	v_writelane_b32 v209, s0, 36
	v_not_b32_e32 v29, v35
	v_not_b32_e32 v31, v37
	v_writelane_b32 v209, s1, 37
	v_cmp_gt_i64_e64 s[0:1], 0, v[42:43]
	v_not_b32_e32 v33, v39
	;; [unrolled: 7-line block ×3, first 2 shown]
	v_not_b32_e32 v43, v49
	v_writelane_b32 v209, s0, 40
	v_not_b32_e32 v45, v51
	v_cmp_gt_i64_e64 s[50:51], 0, v[58:59]
	v_writelane_b32 v209, s1, 41
	v_cmp_gt_i64_e64 s[0:1], 0, v[46:47]
	v_not_b32_e32 v47, v53
	v_cmp_gt_i64_e64 s[52:53], 0, v[60:61]
	v_writelane_b32 v209, s0, 42
	v_cmp_gt_i64_e64 s[54:55], 0, v[62:63]
	v_cmp_gt_i64_e64 s[56:57], 0, v[64:65]
	v_writelane_b32 v209, s1, 43
	v_cmp_gt_i64_e64 s[0:1], 0, v[48:49]
	v_not_b32_e32 v49, v55
	v_cmp_gt_i64_e64 s[58:59], 0, v[66:67]
	v_writelane_b32 v209, s0, 44
	v_cmp_gt_i64_e64 s[60:61], 0, v[68:69]
	v_cmp_gt_i64_e64 s[62:63], 0, v[70:71]
	v_writelane_b32 v209, s1, 45
	v_cmp_gt_i64_e64 s[0:1], 0, v[50:51]
	v_not_b32_e32 v51, v57
	v_cmp_gt_i64_e64 s[64:65], 0, v[72:73]
	v_writelane_b32 v209, s0, 46
	v_cmp_gt_i64_e64 s[66:67], 0, v[74:75]
	v_cmp_gt_i64_e64 s[68:69], 0, v[76:77]
	v_writelane_b32 v209, s1, 47
	v_cmp_gt_i64_e64 s[0:1], 0, v[52:53]
	v_not_b32_e32 v53, v59
	v_not_b32_e32 v59, v65
	v_writelane_b32 v209, s0, 48
	v_not_b32_e32 v65, v71
	v_not_b32_e32 v71, v77
	v_writelane_b32 v209, s1, 49
	v_cmp_gt_i64_e64 s[0:1], 0, v[54:55]
	v_not_b32_e32 v55, v61
	v_not_b32_e32 v61, v67
	v_writelane_b32 v209, s0, 50
	v_not_b32_e32 v67, v73
	v_cmp_gt_i64_e64 s[70:71], 0, v[78:79]
	v_writelane_b32 v209, s1, 51
	v_cmp_gt_i64_e64 s[0:1], 0, v[56:57]
	v_not_b32_e32 v57, v63
	v_not_b32_e32 v63, v69
	v_writelane_b32 v209, s0, 52
	v_not_b32_e32 v69, v75
	v_not_b32_e32 v73, v79
	v_writelane_b32 v209, s1, 53
	s_movk_i32 s0, 0x140
	v_cmp_gt_u32_e64 s[82:83], s0, v0
	v_ashrrev_i32_e32 v0, 31, v1
	v_not_b32_e32 v1, v191
	v_ashrrev_i32_e32 v92, 31, v1
	v_not_b32_e32 v1, v185
	v_ashrrev_i32_e32 v94, 31, v1
	v_not_b32_e32 v1, v179
	v_ashrrev_i32_e32 v96, 31, v1
	v_not_b32_e32 v1, v173
	v_ashrrev_i32_e32 v98, 31, v1
	v_not_b32_e32 v1, v167
	v_ashrrev_i32_e32 v100, 31, v1
	v_not_b32_e32 v1, v161
	v_ashrrev_i32_e32 v102, 31, v1
	v_not_b32_e32 v1, v195
	v_ashrrev_i32_e32 v104, 31, v1
	v_not_b32_e32 v1, v189
	v_ashrrev_i32_e32 v106, 31, v1
	v_not_b32_e32 v1, v183
	v_ashrrev_i32_e32 v108, 31, v1
	v_not_b32_e32 v1, v177
	v_ashrrev_i32_e32 v110, 31, v1
	v_not_b32_e32 v1, v171
	v_ashrrev_i32_e32 v112, 31, v1
	v_not_b32_e32 v1, v165
	v_ashrrev_i32_e32 v114, 31, v1
	v_not_b32_e32 v1, v159
	v_ashrrev_i32_e32 v116, 31, v1
	v_not_b32_e32 v1, v155
	v_ashrrev_i32_e32 v118, 31, v1
	v_not_b32_e32 v1, v149
	v_ashrrev_i32_e32 v120, 31, v1
	v_not_b32_e32 v1, v147
	v_ashrrev_i32_e32 v122, 31, v1
	v_not_b32_e32 v1, v199
	v_ashrrev_i32_e32 v124, 31, v1
	v_not_b32_e32 v1, v197
	v_ashrrev_i32_e32 v126, 31, v1
	v_not_b32_e32 v1, v193
	v_ashrrev_i32_e32 v128, 31, v1
	v_not_b32_e32 v1, v187
	v_ashrrev_i32_e32 v130, 31, v1
	v_not_b32_e32 v1, v181
	v_ashrrev_i32_e32 v132, 31, v1
	v_not_b32_e32 v1, v175
	v_ashrrev_i32_e32 v134, 31, v1
	v_not_b32_e32 v1, v169
	v_ashrrev_i32_e32 v136, 31, v1
	v_not_b32_e32 v1, v163
	v_ashrrev_i32_e32 v138, 31, v1
	v_not_b32_e32 v1, v157
	v_ashrrev_i32_e32 v140, 31, v1
	v_not_b32_e32 v1, v153
	v_cmp_gt_i64_e64 s[72:73], 0, v[80:81]
	v_not_b32_e32 v75, v81
	v_cmp_gt_i64_e64 s[74:75], 0, v[82:83]
	v_not_b32_e32 v77, v83
	;; [unrolled: 2-line block ×5, first 2 shown]
	v_not_b32_e32 v85, v95
	v_not_b32_e32 v87, v97
	;; [unrolled: 1-line block ×3, first 2 shown]
	v_ashrrev_i32_e32 v142, 31, v1
	v_not_b32_e32 v1, v151
	v_lshlrev_b32_e32 v206, 2, v20
	v_ashrrev_i32_e32 v20, 31, v7
	v_ashrrev_i32_e32 v22, 31, v21
	v_ashrrev_i32_e32 v24, 31, v23
	v_ashrrev_i32_e32 v26, 31, v25
	v_ashrrev_i32_e32 v28, 31, v27
	v_ashrrev_i32_e32 v30, 31, v29
	v_ashrrev_i32_e32 v32, 31, v31
	v_ashrrev_i32_e32 v34, 31, v33
	v_ashrrev_i32_e32 v36, 31, v35
	v_ashrrev_i32_e32 v38, 31, v37
	v_ashrrev_i32_e32 v40, 31, v39
	v_ashrrev_i32_e32 v42, 31, v41
	v_ashrrev_i32_e32 v44, 31, v43
	v_ashrrev_i32_e32 v46, 31, v45
	v_ashrrev_i32_e32 v48, 31, v47
	v_ashrrev_i32_e32 v50, 31, v49
	v_ashrrev_i32_e32 v52, 31, v51
	v_ashrrev_i32_e32 v54, 31, v53
	v_ashrrev_i32_e32 v56, 31, v55
	v_ashrrev_i32_e32 v58, 31, v57
	v_ashrrev_i32_e32 v60, 31, v59
	v_ashrrev_i32_e32 v62, 31, v61
	v_ashrrev_i32_e32 v64, 31, v63
	v_ashrrev_i32_e32 v66, 31, v65
	v_ashrrev_i32_e32 v68, 31, v67
	v_ashrrev_i32_e32 v70, 31, v69
	v_ashrrev_i32_e32 v72, 31, v71
	v_ashrrev_i32_e32 v74, 31, v73
	v_ashrrev_i32_e32 v76, 31, v75
	v_ashrrev_i32_e32 v78, 31, v77
	v_ashrrev_i32_e32 v80, 31, v79
	v_ashrrev_i32_e32 v82, 31, v81
	v_ashrrev_i32_e32 v84, 31, v83
	v_ashrrev_i32_e32 v86, 31, v85
	v_ashrrev_i32_e32 v88, 31, v87
	v_ashrrev_i32_e32 v90, 31, v89
	v_ashrrev_i32_e32 v144, 31, v1
	v_mov_b32_e32 v1, v0
	v_mov_b32_e32 v7, v20
	;; [unrolled: 1-line block ×14, first 2 shown]
	v_cmp_gt_i64_e64 s[90:91], 0, v[190:191]
	v_mov_b32_e32 v45, v46
	v_cmp_gt_i64_e64 s[92:93], 0, v[184:185]
	v_mov_b32_e32 v47, v48
	;; [unrolled: 2-line block ×26, first 2 shown]
	v_cmp_gt_i64_e64 s[44:45], 0, v[150:151]
	v_cmp_eq_u32_e64 s[46:47], 1, v8
	v_mov_b32_e32 v97, v98
	v_mov_b32_e32 v99, v100
	;; [unrolled: 1-line block ×16, first 2 shown]
	v_lshl_add_u64 v[146:147], v[8:9], 0, -1
	v_mov_b32_e32 v129, v130
	v_mov_b32_e32 v131, v132
	;; [unrolled: 1-line block ×8, first 2 shown]
	s_branch .LBB10_2
.LBB10_1:                               ;   in Loop: Header=BB10_2 Depth=1
	s_or_b64 exec, exec, s[48:49]
	s_add_i32 s33, s33, -1
	s_cmp_lg_u32 s33, 0
	s_waitcnt lgkmcnt(0)
	s_barrier
	s_cbranch_scc0 .LBB10_20
.LBB10_2:                               ; =>This Inner Loop Header: Depth=1
	s_and_saveexec_b64 s[48:49], s[82:83]
	s_cbranch_execz .LBB10_4
; %bb.3:                                ;   in Loop: Header=BB10_2 Depth=1
	ds_write_b32 v208, v9
.LBB10_4:                               ;   in Loop: Header=BB10_2 Depth=1
	s_or_b64 exec, exec, s[48:49]
	v_readlane_b32 s48, v209, 4
	v_readlane_b32 s49, v209, 5
	s_waitcnt lgkmcnt(0)
	s_barrier
	v_cndmask_b32_e64 v8, 0, 1, s[48:49]
	v_readlane_b32 s48, v209, 18
	v_readlane_b32 s49, v209, 19
	v_cmp_ne_u32_e32 vcc, 0, v8
	s_nop 0
	v_cndmask_b32_e64 v148, 0, 1, s[48:49]
	v_xor_b32_e32 v8, vcc_hi, v11
	v_xor_b32_e32 v145, vcc_lo, v10
	v_cmp_ne_u32_e32 vcc, 0, v148
	v_readlane_b32 s48, v209, 20
	v_and_b32_e32 v8, exec_hi, v8
	v_xor_b32_e32 v148, vcc_hi, v1
	v_readlane_b32 s49, v209, 21
	v_and_b32_e32 v8, v8, v148
	v_xor_b32_e32 v149, vcc_lo, v0
	v_cndmask_b32_e64 v148, 0, 1, s[48:49]
	v_cmp_ne_u32_e32 vcc, 0, v148
	v_readlane_b32 s48, v209, 22
	v_readlane_b32 s49, v209, 23
	v_xor_b32_e32 v148, vcc_hi, v7
	v_and_b32_e32 v145, exec_lo, v145
	v_and_b32_e32 v8, v8, v148
	v_cndmask_b32_e64 v148, 0, 1, s[48:49]
	v_and_b32_e32 v145, v145, v149
	v_xor_b32_e32 v149, vcc_lo, v20
	v_cmp_ne_u32_e32 vcc, 0, v148
	v_readlane_b32 s48, v209, 24
	v_readlane_b32 s49, v209, 25
	v_xor_b32_e32 v148, vcc_hi, v21
	v_and_b32_e32 v8, v8, v148
	v_cndmask_b32_e64 v148, 0, 1, s[48:49]
	v_and_b32_e32 v145, v145, v149
	v_xor_b32_e32 v149, vcc_lo, v22
	v_cmp_ne_u32_e32 vcc, 0, v148
	v_readlane_b32 s48, v209, 26
	v_readlane_b32 s49, v209, 27
	v_xor_b32_e32 v148, vcc_hi, v23
	v_and_b32_e32 v8, v8, v148
	v_cndmask_b32_e64 v148, 0, 1, s[48:49]
	v_and_b32_e32 v145, v145, v149
	v_xor_b32_e32 v149, vcc_lo, v24
	v_cmp_ne_u32_e32 vcc, 0, v148
	v_readlane_b32 s48, v209, 28
	v_readlane_b32 s49, v209, 29
	v_xor_b32_e32 v148, vcc_hi, v25
	v_and_b32_e32 v8, v8, v148
	v_cndmask_b32_e64 v148, 0, 1, s[48:49]
	v_and_b32_e32 v145, v145, v149
	v_xor_b32_e32 v149, vcc_lo, v26
	v_cmp_ne_u32_e32 vcc, 0, v148
	v_readlane_b32 s48, v209, 30
	v_readlane_b32 s49, v209, 31
	v_xor_b32_e32 v148, vcc_hi, v27
	v_and_b32_e32 v8, v8, v148
	v_cndmask_b32_e64 v148, 0, 1, s[48:49]
	v_and_b32_e32 v145, v145, v149
	v_xor_b32_e32 v149, vcc_lo, v28
	v_cmp_ne_u32_e32 vcc, 0, v148
	v_readlane_b32 s48, v209, 32
	v_and_b32_e32 v145, v145, v149
	v_xor_b32_e32 v148, vcc_hi, v29
	v_xor_b32_e32 v149, vcc_lo, v30
	v_readlane_b32 s49, v209, 33
	v_and_b32_e32 v8, v8, v148
	v_and_b32_e32 v148, v145, v149
	v_cndmask_b32_e64 v145, 0, 1, s[48:49]
	v_cmp_ne_u32_e32 vcc, 0, v145
	s_nop 1
	v_xor_b32_e32 v145, vcc_hi, v31
	v_xor_b32_e32 v149, vcc_lo, v32
	v_and_b32_e32 v145, v8, v145
	v_and_b32_e32 v8, v148, v149
	v_mbcnt_lo_u32_b32 v148, v8, 0
	v_mbcnt_hi_u32_b32 v148, v145, v148
	v_cmp_eq_u32_e32 vcc, 0, v148
	s_and_saveexec_b64 s[48:49], vcc
	s_cbranch_execz .LBB10_6
; %bb.5:                                ;   in Loop: Header=BB10_2 Depth=1
	v_bcnt_u32_b32 v8, v8, 0
	v_bcnt_u32_b32 v8, v145, v8
	ds_add_u32 v200, v8
.LBB10_6:                               ;   in Loop: Header=BB10_2 Depth=1
	s_or_b64 exec, exec, s[48:49]
	v_readlane_b32 s48, v209, 6
	v_readlane_b32 s49, v209, 7
	s_nop 1
	v_cndmask_b32_e64 v8, 0, 1, s[48:49]
	v_readlane_b32 s48, v209, 34
	v_readlane_b32 s49, v209, 35
	v_cmp_ne_u32_e32 vcc, 0, v8
	s_nop 0
	v_cndmask_b32_e64 v148, 0, 1, s[48:49]
	v_xor_b32_e32 v8, vcc_hi, v3
	v_xor_b32_e32 v145, vcc_lo, v2
	v_cmp_ne_u32_e32 vcc, 0, v148
	v_readlane_b32 s48, v209, 36
	v_and_b32_e32 v8, exec_hi, v8
	v_xor_b32_e32 v148, vcc_hi, v33
	v_readlane_b32 s49, v209, 37
	v_and_b32_e32 v8, v8, v148
	v_xor_b32_e32 v149, vcc_lo, v34
	v_cndmask_b32_e64 v148, 0, 1, s[48:49]
	v_cmp_ne_u32_e32 vcc, 0, v148
	v_readlane_b32 s48, v209, 38
	v_readlane_b32 s49, v209, 39
	v_xor_b32_e32 v148, vcc_hi, v35
	v_and_b32_e32 v145, exec_lo, v145
	v_and_b32_e32 v8, v8, v148
	v_cndmask_b32_e64 v148, 0, 1, s[48:49]
	v_and_b32_e32 v145, v145, v149
	v_xor_b32_e32 v149, vcc_lo, v36
	v_cmp_ne_u32_e32 vcc, 0, v148
	v_readlane_b32 s48, v209, 40
	v_readlane_b32 s49, v209, 41
	v_xor_b32_e32 v148, vcc_hi, v37
	v_and_b32_e32 v8, v8, v148
	v_cndmask_b32_e64 v148, 0, 1, s[48:49]
	v_and_b32_e32 v145, v145, v149
	v_xor_b32_e32 v149, vcc_lo, v38
	v_cmp_ne_u32_e32 vcc, 0, v148
	v_readlane_b32 s48, v209, 42
	v_readlane_b32 s49, v209, 43
	v_xor_b32_e32 v148, vcc_hi, v39
	;; [unrolled: 8-line block ×4, first 2 shown]
	v_and_b32_e32 v8, v8, v148
	v_cndmask_b32_e64 v148, 0, 1, s[48:49]
	v_and_b32_e32 v145, v145, v149
	v_xor_b32_e32 v149, vcc_lo, v44
	v_cmp_ne_u32_e32 vcc, 0, v148
	v_readlane_b32 s48, v209, 48
	v_and_b32_e32 v145, v145, v149
	v_xor_b32_e32 v148, vcc_hi, v45
	v_xor_b32_e32 v149, vcc_lo, v46
	v_readlane_b32 s49, v209, 49
	v_and_b32_e32 v8, v8, v148
	v_and_b32_e32 v148, v145, v149
	v_cndmask_b32_e64 v145, 0, 1, s[48:49]
	v_cmp_ne_u32_e32 vcc, 0, v145
	s_nop 1
	v_xor_b32_e32 v145, vcc_hi, v47
	v_xor_b32_e32 v149, vcc_lo, v48
	v_and_b32_e32 v145, v8, v145
	v_and_b32_e32 v8, v148, v149
	v_mbcnt_lo_u32_b32 v148, v8, 0
	v_mbcnt_hi_u32_b32 v148, v145, v148
	v_cmp_eq_u32_e32 vcc, 0, v148
	s_and_saveexec_b64 s[48:49], vcc
	s_cbranch_execz .LBB10_8
; %bb.7:                                ;   in Loop: Header=BB10_2 Depth=1
	v_bcnt_u32_b32 v8, v8, 0
	v_bcnt_u32_b32 v8, v145, v8
	ds_add_u32 v201, v8
.LBB10_8:                               ;   in Loop: Header=BB10_2 Depth=1
	s_or_b64 exec, exec, s[48:49]
	v_readlane_b32 s48, v209, 8
	v_readlane_b32 s49, v209, 9
	s_nop 1
	v_cndmask_b32_e64 v8, 0, 1, s[48:49]
	v_readlane_b32 s48, v209, 50
	v_readlane_b32 s49, v209, 51
	v_cmp_ne_u32_e32 vcc, 0, v8
	s_nop 0
	v_cndmask_b32_e64 v148, 0, 1, s[48:49]
	v_xor_b32_e32 v8, vcc_hi, v13
	v_xor_b32_e32 v145, vcc_lo, v12
	v_cmp_ne_u32_e32 vcc, 0, v148
	v_readlane_b32 s48, v209, 52
	v_and_b32_e32 v8, exec_hi, v8
	v_xor_b32_e32 v148, vcc_hi, v49
	v_readlane_b32 s49, v209, 53
	v_and_b32_e32 v8, v8, v148
	v_xor_b32_e32 v149, vcc_lo, v50
	v_cndmask_b32_e64 v148, 0, 1, s[48:49]
	v_cmp_ne_u32_e32 vcc, 0, v148
	v_and_b32_e32 v145, exec_lo, v145
	v_and_b32_e32 v145, v145, v149
	v_xor_b32_e32 v148, vcc_hi, v51
	v_and_b32_e32 v8, v8, v148
	v_cndmask_b32_e64 v148, 0, 1, s[50:51]
	v_xor_b32_e32 v149, vcc_lo, v52
	v_cmp_ne_u32_e32 vcc, 0, v148
	v_and_b32_e32 v145, v145, v149
	s_nop 0
	v_xor_b32_e32 v148, vcc_hi, v53
	v_and_b32_e32 v8, v8, v148
	v_cndmask_b32_e64 v148, 0, 1, s[52:53]
	v_xor_b32_e32 v149, vcc_lo, v54
	v_cmp_ne_u32_e32 vcc, 0, v148
	v_and_b32_e32 v145, v145, v149
	s_nop 0
	;; [unrolled: 7-line block ×5, first 2 shown]
	v_xor_b32_e32 v148, vcc_hi, v61
	v_xor_b32_e32 v149, vcc_lo, v62
	v_and_b32_e32 v8, v8, v148
	v_and_b32_e32 v148, v145, v149
	v_cndmask_b32_e64 v145, 0, 1, s[60:61]
	v_cmp_ne_u32_e32 vcc, 0, v145
	s_nop 1
	v_xor_b32_e32 v145, vcc_hi, v63
	v_xor_b32_e32 v149, vcc_lo, v64
	v_and_b32_e32 v145, v8, v145
	v_and_b32_e32 v8, v148, v149
	v_mbcnt_lo_u32_b32 v148, v8, 0
	v_mbcnt_hi_u32_b32 v148, v145, v148
	v_cmp_eq_u32_e32 vcc, 0, v148
	s_and_saveexec_b64 s[48:49], vcc
	s_cbranch_execz .LBB10_10
; %bb.9:                                ;   in Loop: Header=BB10_2 Depth=1
	v_bcnt_u32_b32 v8, v8, 0
	v_bcnt_u32_b32 v8, v145, v8
	ds_add_u32 v202, v8
.LBB10_10:                              ;   in Loop: Header=BB10_2 Depth=1
	s_or_b64 exec, exec, s[48:49]
	v_readlane_b32 s48, v209, 10
	v_readlane_b32 s49, v209, 11
	v_cndmask_b32_e64 v148, 0, 1, s[62:63]
	s_nop 0
	v_cndmask_b32_e64 v8, 0, 1, s[48:49]
	v_cmp_ne_u32_e32 vcc, 0, v8
	s_nop 1
	v_xor_b32_e32 v8, vcc_hi, v5
	v_xor_b32_e32 v145, vcc_lo, v4
	v_cmp_ne_u32_e32 vcc, 0, v148
	v_and_b32_e32 v8, exec_hi, v8
	v_and_b32_e32 v145, exec_lo, v145
	v_xor_b32_e32 v148, vcc_hi, v65
	v_and_b32_e32 v8, v8, v148
	v_cndmask_b32_e64 v148, 0, 1, s[64:65]
	v_xor_b32_e32 v149, vcc_lo, v66
	v_cmp_ne_u32_e32 vcc, 0, v148
	v_and_b32_e32 v145, v145, v149
	s_nop 0
	v_xor_b32_e32 v148, vcc_hi, v67
	v_and_b32_e32 v8, v8, v148
	v_cndmask_b32_e64 v148, 0, 1, s[66:67]
	v_xor_b32_e32 v149, vcc_lo, v68
	v_cmp_ne_u32_e32 vcc, 0, v148
	v_and_b32_e32 v145, v145, v149
	s_nop 0
	;; [unrolled: 7-line block ×6, first 2 shown]
	v_xor_b32_e32 v148, vcc_hi, v77
	v_xor_b32_e32 v149, vcc_lo, v78
	v_and_b32_e32 v8, v8, v148
	v_and_b32_e32 v148, v145, v149
	v_cndmask_b32_e64 v145, 0, 1, s[76:77]
	v_cmp_ne_u32_e32 vcc, 0, v145
	s_nop 1
	v_xor_b32_e32 v145, vcc_hi, v79
	v_xor_b32_e32 v149, vcc_lo, v80
	v_and_b32_e32 v145, v8, v145
	v_and_b32_e32 v8, v148, v149
	v_mbcnt_lo_u32_b32 v148, v8, 0
	v_mbcnt_hi_u32_b32 v148, v145, v148
	v_cmp_eq_u32_e32 vcc, 0, v148
	s_and_saveexec_b64 s[48:49], vcc
	s_cbranch_execz .LBB10_12
; %bb.11:                               ;   in Loop: Header=BB10_2 Depth=1
	v_bcnt_u32_b32 v8, v8, 0
	v_bcnt_u32_b32 v8, v145, v8
	ds_add_u32 v203, v8
.LBB10_12:                              ;   in Loop: Header=BB10_2 Depth=1
	s_or_b64 exec, exec, s[48:49]
	v_readlane_b32 s48, v209, 12
	v_readlane_b32 s49, v209, 13
	v_cndmask_b32_e64 v148, 0, 1, s[78:79]
	s_nop 0
	v_cndmask_b32_e64 v8, 0, 1, s[48:49]
	v_cmp_ne_u32_e32 vcc, 0, v8
	s_nop 1
	v_xor_b32_e32 v8, vcc_hi, v15
	v_xor_b32_e32 v145, vcc_lo, v14
	v_cmp_ne_u32_e32 vcc, 0, v148
	v_and_b32_e32 v8, exec_hi, v8
	v_and_b32_e32 v145, exec_lo, v145
	v_xor_b32_e32 v148, vcc_hi, v81
	v_and_b32_e32 v8, v8, v148
	v_cndmask_b32_e64 v148, 0, 1, s[80:81]
	v_xor_b32_e32 v149, vcc_lo, v82
	v_cmp_ne_u32_e32 vcc, 0, v148
	v_and_b32_e32 v145, v145, v149
	s_nop 0
	v_xor_b32_e32 v148, vcc_hi, v83
	v_and_b32_e32 v8, v8, v148
	v_cndmask_b32_e64 v148, 0, 1, s[84:85]
	v_xor_b32_e32 v149, vcc_lo, v84
	v_cmp_ne_u32_e32 vcc, 0, v148
	v_and_b32_e32 v145, v145, v149
	s_nop 0
	;; [unrolled: 7-line block ×6, first 2 shown]
	v_xor_b32_e32 v148, vcc_hi, v93
	v_xor_b32_e32 v149, vcc_lo, v94
	v_and_b32_e32 v8, v8, v148
	v_and_b32_e32 v148, v145, v149
	v_cndmask_b32_e64 v145, 0, 1, s[94:95]
	v_cmp_ne_u32_e32 vcc, 0, v145
	s_nop 1
	v_xor_b32_e32 v145, vcc_hi, v95
	v_xor_b32_e32 v149, vcc_lo, v96
	v_and_b32_e32 v145, v8, v145
	v_and_b32_e32 v8, v148, v149
	v_mbcnt_lo_u32_b32 v148, v8, 0
	v_mbcnt_hi_u32_b32 v148, v145, v148
	v_cmp_eq_u32_e32 vcc, 0, v148
	s_and_saveexec_b64 s[48:49], vcc
	s_cbranch_execz .LBB10_14
; %bb.13:                               ;   in Loop: Header=BB10_2 Depth=1
	v_bcnt_u32_b32 v8, v8, 0
	v_bcnt_u32_b32 v8, v145, v8
	ds_add_u32 v204, v8
.LBB10_14:                              ;   in Loop: Header=BB10_2 Depth=1
	s_or_b64 exec, exec, s[48:49]
	v_readlane_b32 s48, v209, 14
	v_readlane_b32 s49, v209, 15
	v_cndmask_b32_e64 v148, 0, 1, s[96:97]
	s_nop 0
	v_cndmask_b32_e64 v8, 0, 1, s[48:49]
	v_cmp_ne_u32_e32 vcc, 0, v8
	s_nop 1
	v_xor_b32_e32 v8, vcc_hi, v17
	v_xor_b32_e32 v145, vcc_lo, v16
	v_cmp_ne_u32_e32 vcc, 0, v148
	v_and_b32_e32 v8, exec_hi, v8
	v_and_b32_e32 v145, exec_lo, v145
	v_xor_b32_e32 v148, vcc_hi, v97
	v_and_b32_e32 v8, v8, v148
	v_cndmask_b32_e64 v148, 0, 1, s[98:99]
	v_xor_b32_e32 v149, vcc_lo, v98
	v_cmp_ne_u32_e32 vcc, 0, v148
	v_and_b32_e32 v145, v145, v149
	s_nop 0
	v_xor_b32_e32 v148, vcc_hi, v99
	v_and_b32_e32 v8, v8, v148
	v_cndmask_b32_e64 v148, 0, 1, s[0:1]
	v_xor_b32_e32 v149, vcc_lo, v100
	v_cmp_ne_u32_e32 vcc, 0, v148
	v_and_b32_e32 v145, v145, v149
	s_nop 0
	;; [unrolled: 7-line block ×6, first 2 shown]
	v_xor_b32_e32 v148, vcc_hi, v109
	v_xor_b32_e32 v149, vcc_lo, v110
	v_and_b32_e32 v8, v8, v148
	v_and_b32_e32 v148, v145, v149
	v_cndmask_b32_e64 v145, 0, 1, s[10:11]
	v_cmp_ne_u32_e32 vcc, 0, v145
	s_nop 1
	v_xor_b32_e32 v145, vcc_hi, v111
	v_xor_b32_e32 v149, vcc_lo, v112
	v_and_b32_e32 v145, v8, v145
	v_and_b32_e32 v8, v148, v149
	v_mbcnt_lo_u32_b32 v148, v8, 0
	v_mbcnt_hi_u32_b32 v148, v145, v148
	v_cmp_eq_u32_e32 vcc, 0, v148
	s_and_saveexec_b64 s[48:49], vcc
	s_cbranch_execz .LBB10_16
; %bb.15:                               ;   in Loop: Header=BB10_2 Depth=1
	v_bcnt_u32_b32 v8, v8, 0
	v_bcnt_u32_b32 v8, v145, v8
	ds_add_u32 v205, v8
.LBB10_16:                              ;   in Loop: Header=BB10_2 Depth=1
	s_or_b64 exec, exec, s[48:49]
	v_readlane_b32 s48, v209, 16
	v_readlane_b32 s49, v209, 17
	v_cndmask_b32_e64 v148, 0, 1, s[12:13]
	s_nop 0
	v_cndmask_b32_e64 v8, 0, 1, s[48:49]
	v_cmp_ne_u32_e32 vcc, 0, v8
	s_nop 1
	v_xor_b32_e32 v8, vcc_hi, v19
	v_xor_b32_e32 v145, vcc_lo, v18
	v_cmp_ne_u32_e32 vcc, 0, v148
	v_and_b32_e32 v8, exec_hi, v8
	v_and_b32_e32 v145, exec_lo, v145
	v_xor_b32_e32 v148, vcc_hi, v113
	v_and_b32_e32 v8, v8, v148
	v_cndmask_b32_e64 v148, 0, 1, s[14:15]
	v_xor_b32_e32 v149, vcc_lo, v114
	v_cmp_ne_u32_e32 vcc, 0, v148
	v_and_b32_e32 v145, v145, v149
	s_nop 0
	v_xor_b32_e32 v148, vcc_hi, v115
	v_and_b32_e32 v8, v8, v148
	v_cndmask_b32_e64 v148, 0, 1, s[16:17]
	v_xor_b32_e32 v149, vcc_lo, v116
	v_cmp_ne_u32_e32 vcc, 0, v148
	v_and_b32_e32 v145, v145, v149
	s_nop 0
	v_xor_b32_e32 v148, vcc_hi, v117
	v_and_b32_e32 v8, v8, v148
	v_cndmask_b32_e64 v148, 0, 1, s[18:19]
	v_xor_b32_e32 v149, vcc_lo, v118
	v_cmp_ne_u32_e32 vcc, 0, v148
	v_and_b32_e32 v145, v145, v149
	s_nop 0
	v_xor_b32_e32 v148, vcc_hi, v119
	v_and_b32_e32 v8, v8, v148
	v_cndmask_b32_e64 v148, 0, 1, s[20:21]
	v_xor_b32_e32 v149, vcc_lo, v120
	v_cmp_ne_u32_e32 vcc, 0, v148
	v_and_b32_e32 v145, v145, v149
	s_nop 0
	v_xor_b32_e32 v148, vcc_hi, v121
	v_and_b32_e32 v8, v8, v148
	v_cndmask_b32_e64 v148, 0, 1, s[22:23]
	v_xor_b32_e32 v149, vcc_lo, v122
	v_cmp_ne_u32_e32 vcc, 0, v148
	v_and_b32_e32 v145, v145, v149
	s_nop 0
	v_xor_b32_e32 v148, vcc_hi, v123
	v_and_b32_e32 v8, v8, v148
	v_cndmask_b32_e64 v148, 0, 1, s[24:25]
	v_xor_b32_e32 v149, vcc_lo, v124
	v_cmp_ne_u32_e32 vcc, 0, v148
	v_and_b32_e32 v145, v145, v149
	s_nop 0
	v_xor_b32_e32 v148, vcc_hi, v125
	v_xor_b32_e32 v149, vcc_lo, v126
	v_and_b32_e32 v8, v8, v148
	v_and_b32_e32 v148, v145, v149
	v_cndmask_b32_e64 v145, 0, 1, s[26:27]
	v_cmp_ne_u32_e32 vcc, 0, v145
	s_nop 1
	v_xor_b32_e32 v145, vcc_hi, v127
	v_xor_b32_e32 v149, vcc_lo, v128
	v_and_b32_e32 v145, v8, v145
	v_and_b32_e32 v8, v148, v149
	v_mbcnt_lo_u32_b32 v148, v8, 0
	v_mbcnt_hi_u32_b32 v148, v145, v148
	v_cmp_eq_u32_e32 vcc, 0, v148
	s_and_saveexec_b64 s[48:49], vcc
	s_cbranch_execz .LBB10_18
; %bb.17:                               ;   in Loop: Header=BB10_2 Depth=1
	v_bcnt_u32_b32 v8, v8, 0
	v_bcnt_u32_b32 v8, v145, v8
	ds_add_u32 v206, v8
.LBB10_18:                              ;   in Loop: Header=BB10_2 Depth=1
	s_or_b64 exec, exec, s[48:49]
	v_cndmask_b32_e64 v8, 0, 1, s[46:47]
	v_cmp_ne_u32_e32 vcc, 0, v8
	v_cndmask_b32_e64 v148, 0, 1, s[28:29]
	s_nop 0
	v_xor_b32_e32 v8, vcc_hi, v147
	v_xor_b32_e32 v145, vcc_lo, v146
	v_cmp_ne_u32_e32 vcc, 0, v148
	v_and_b32_e32 v8, exec_hi, v8
	v_and_b32_e32 v145, exec_lo, v145
	v_xor_b32_e32 v148, vcc_hi, v129
	v_and_b32_e32 v8, v8, v148
	v_cndmask_b32_e64 v148, 0, 1, s[30:31]
	v_xor_b32_e32 v149, vcc_lo, v130
	v_cmp_ne_u32_e32 vcc, 0, v148
	v_and_b32_e32 v145, v145, v149
	s_nop 0
	v_xor_b32_e32 v148, vcc_hi, v131
	v_and_b32_e32 v8, v8, v148
	v_cndmask_b32_e64 v148, 0, 1, s[34:35]
	v_xor_b32_e32 v149, vcc_lo, v132
	v_cmp_ne_u32_e32 vcc, 0, v148
	v_and_b32_e32 v145, v145, v149
	s_nop 0
	;; [unrolled: 7-line block ×6, first 2 shown]
	v_xor_b32_e32 v148, vcc_hi, v141
	v_xor_b32_e32 v149, vcc_lo, v142
	v_and_b32_e32 v8, v8, v148
	v_and_b32_e32 v148, v145, v149
	v_cndmask_b32_e64 v145, 0, 1, s[44:45]
	v_cmp_ne_u32_e32 vcc, 0, v145
	s_nop 1
	v_xor_b32_e32 v145, vcc_hi, v143
	v_xor_b32_e32 v149, vcc_lo, v144
	v_and_b32_e32 v145, v8, v145
	v_and_b32_e32 v8, v148, v149
	v_mbcnt_lo_u32_b32 v148, v8, 0
	v_mbcnt_hi_u32_b32 v148, v145, v148
	v_cmp_eq_u32_e32 vcc, 0, v148
	s_and_saveexec_b64 s[48:49], vcc
	s_cbranch_execz .LBB10_1
; %bb.19:                               ;   in Loop: Header=BB10_2 Depth=1
	v_bcnt_u32_b32 v8, v8, 0
	v_bcnt_u32_b32 v8, v145, v8
	ds_add_u32 v207, v8
	s_branch .LBB10_1
.LBB10_20:
	s_and_saveexec_b64 s[0:1], s[82:83]
	s_cbranch_execz .LBB10_22
; %bb.21:
	ds_read_b32 v2, v208
	v_readlane_b32 s0, v209, 0
	v_readlane_b32 s2, v209, 2
	;; [unrolled: 1-line block ×3, first 2 shown]
	v_mov_b32_e32 v7, 0
	v_mov_b32_e32 v0, s2
	;; [unrolled: 1-line block ×3, first 2 shown]
	v_lshl_add_u64 v[0:1], v[6:7], 2, v[0:1]
	v_readlane_b32 s1, v209, 1
	s_waitcnt lgkmcnt(0)
	global_store_dword v[0:1], v2, off
.LBB10_22:
	s_endpgm
	.section	.rodata,"a",@progbits
	.p2align	6, 0x0
	.amdhsa_kernel _Z6kernelI9histogramILN6hipcub23BlockHistogramAlgorithmE0EEiLj320ELj8ELj320ELj100EEvPKT0_PS4_
		.amdhsa_group_segment_fixed_size 1280
		.amdhsa_private_segment_fixed_size 0
		.amdhsa_kernarg_size 16
		.amdhsa_user_sgpr_count 2
		.amdhsa_user_sgpr_dispatch_ptr 0
		.amdhsa_user_sgpr_queue_ptr 0
		.amdhsa_user_sgpr_kernarg_segment_ptr 1
		.amdhsa_user_sgpr_dispatch_id 0
		.amdhsa_user_sgpr_kernarg_preload_length 0
		.amdhsa_user_sgpr_kernarg_preload_offset 0
		.amdhsa_user_sgpr_private_segment_size 0
		.amdhsa_uses_dynamic_stack 0
		.amdhsa_enable_private_segment 0
		.amdhsa_system_sgpr_workgroup_id_x 1
		.amdhsa_system_sgpr_workgroup_id_y 0
		.amdhsa_system_sgpr_workgroup_id_z 0
		.amdhsa_system_sgpr_workgroup_info 0
		.amdhsa_system_vgpr_workitem_id 0
		.amdhsa_next_free_vgpr 210
		.amdhsa_next_free_sgpr 100
		.amdhsa_accum_offset 212
		.amdhsa_reserve_vcc 1
		.amdhsa_float_round_mode_32 0
		.amdhsa_float_round_mode_16_64 0
		.amdhsa_float_denorm_mode_32 3
		.amdhsa_float_denorm_mode_16_64 3
		.amdhsa_dx10_clamp 1
		.amdhsa_ieee_mode 1
		.amdhsa_fp16_overflow 0
		.amdhsa_tg_split 0
		.amdhsa_exception_fp_ieee_invalid_op 0
		.amdhsa_exception_fp_denorm_src 0
		.amdhsa_exception_fp_ieee_div_zero 0
		.amdhsa_exception_fp_ieee_overflow 0
		.amdhsa_exception_fp_ieee_underflow 0
		.amdhsa_exception_fp_ieee_inexact 0
		.amdhsa_exception_int_div_zero 0
	.end_amdhsa_kernel
	.section	.text._Z6kernelI9histogramILN6hipcub23BlockHistogramAlgorithmE0EEiLj320ELj8ELj320ELj100EEvPKT0_PS4_,"axG",@progbits,_Z6kernelI9histogramILN6hipcub23BlockHistogramAlgorithmE0EEiLj320ELj8ELj320ELj100EEvPKT0_PS4_,comdat
.Lfunc_end10:
	.size	_Z6kernelI9histogramILN6hipcub23BlockHistogramAlgorithmE0EEiLj320ELj8ELj320ELj100EEvPKT0_PS4_, .Lfunc_end10-_Z6kernelI9histogramILN6hipcub23BlockHistogramAlgorithmE0EEiLj320ELj8ELj320ELj100EEvPKT0_PS4_
                                        ; -- End function
	.section	.AMDGPU.csdata,"",@progbits
; Kernel info:
; codeLenInByte = 5736
; NumSgprs: 106
; NumVgprs: 210
; NumAgprs: 0
; TotalNumVgprs: 210
; ScratchSize: 0
; MemoryBound: 0
; FloatMode: 240
; IeeeMode: 1
; LDSByteSize: 1280 bytes/workgroup (compile time only)
; SGPRBlocks: 13
; VGPRBlocks: 26
; NumSGPRsForWavesPerEU: 106
; NumVGPRsForWavesPerEU: 210
; AccumOffset: 212
; Occupancy: 2
; WaveLimiterHint : 0
; COMPUTE_PGM_RSRC2:SCRATCH_EN: 0
; COMPUTE_PGM_RSRC2:USER_SGPR: 2
; COMPUTE_PGM_RSRC2:TRAP_HANDLER: 0
; COMPUTE_PGM_RSRC2:TGID_X_EN: 1
; COMPUTE_PGM_RSRC2:TGID_Y_EN: 0
; COMPUTE_PGM_RSRC2:TGID_Z_EN: 0
; COMPUTE_PGM_RSRC2:TIDIG_COMP_CNT: 0
; COMPUTE_PGM_RSRC3_GFX90A:ACCUM_OFFSET: 52
; COMPUTE_PGM_RSRC3_GFX90A:TG_SPLIT: 0
	.section	.text._Z6kernelI9histogramILN6hipcub23BlockHistogramAlgorithmE0EEiLj320ELj16ELj320ELj100EEvPKT0_PS4_,"axG",@progbits,_Z6kernelI9histogramILN6hipcub23BlockHistogramAlgorithmE0EEiLj320ELj16ELj320ELj100EEvPKT0_PS4_,comdat
	.protected	_Z6kernelI9histogramILN6hipcub23BlockHistogramAlgorithmE0EEiLj320ELj16ELj320ELj100EEvPKT0_PS4_ ; -- Begin function _Z6kernelI9histogramILN6hipcub23BlockHistogramAlgorithmE0EEiLj320ELj16ELj320ELj100EEvPKT0_PS4_
	.globl	_Z6kernelI9histogramILN6hipcub23BlockHistogramAlgorithmE0EEiLj320ELj16ELj320ELj100EEvPKT0_PS4_
	.p2align	8
	.type	_Z6kernelI9histogramILN6hipcub23BlockHistogramAlgorithmE0EEiLj320ELj16ELj320ELj100EEvPKT0_PS4_,@function
_Z6kernelI9histogramILN6hipcub23BlockHistogramAlgorithmE0EEiLj320ELj16ELj320ELj100EEvPKT0_PS4_: ; @_Z6kernelI9histogramILN6hipcub23BlockHistogramAlgorithmE0EEiLj320ELj16ELj320ELj100EEvPKT0_PS4_
; %bb.0:
	s_load_dwordx4 s[4:7], s[0:1], 0x0
	s_mulk_i32 s2, 0x140
                                        ; implicit-def: $vgpr252 : SGPR spill to VGPR lane
	v_add_u32_e32 v4, s2, v0
	v_mov_b32_e32 v2, v4
	v_lshlrev_b32_e32 v20, 4, v4
	s_waitcnt lgkmcnt(0)
	v_mov_b32_e32 v6, s4
	v_writelane_b32 v252, s4, 0
	v_mov_b32_e32 v21, 0
	scratch_store_dword off, v0, off offset:208 ; 4-byte Folded Spill
	v_mov_b32_e32 v7, s5
	scratch_store_dwordx2 off, v[2:3], off offset:412 ; 8-byte Folded Spill
	v_lshl_add_u64 v[18:19], v[20:21], 2, v[6:7]
	global_load_dwordx4 v[2:5], v[18:19], off
	global_load_dwordx4 v[6:9], v[18:19], off offset:16
	global_load_dwordx4 v[14:17], v[18:19], off offset:32
	;; [unrolled: 1-line block ×3, first 2 shown]
	v_writelane_b32 v252, s5, 1
	v_writelane_b32 v252, s6, 2
	;; [unrolled: 1-line block ×3, first 2 shown]
	v_mov_b32_e32 v18, v21
	v_mov_b32_e32 v22, v21
	;; [unrolled: 1-line block ×15, first 2 shown]
                                        ; implicit-def: $vgpr253 : SGPR spill to VGPR lane
	v_mov_b32_e32 v230, v21
	v_mov_b32_e32 v228, v21
	;; [unrolled: 1-line block ×32, first 2 shown]
                                        ; implicit-def: $vgpr254 : SGPR spill to VGPR lane
	v_mov_b32_e32 v104, v21
	v_mov_b32_e32 v102, v21
	;; [unrolled: 1-line block ×26, first 2 shown]
	s_waitcnt vmcnt(3)
	v_and_b32_e32 v20, 1, v2
	v_cmp_eq_u32_e64 s[0:1], 1, v20
	v_lshl_add_u64 v[30:31], v[20:21], 0, -1
	v_and_b32_e32 v20, 1, v3
	v_writelane_b32 v252, s0, 4
	v_lshlrev_b32_e32 v0, 2, v2
	v_lshlrev_b32_e32 v1, 30, v2
	v_writelane_b32 v252, s1, 5
	v_cmp_eq_u32_e64 s[0:1], 1, v20
	v_lshlrev_b32_e32 v19, 29, v2
	v_lshlrev_b32_e32 v23, 28, v2
	;; [unrolled: 1-line block ×7, first 2 shown]
	scratch_store_dword off, v0, off offset:364 ; 4-byte Folded Spill
	v_lshlrev_b32_e32 v45, 30, v3
	v_lshlrev_b32_e32 v47, 29, v3
	;; [unrolled: 1-line block ×9, first 2 shown]
	v_lshl_add_u64 v[2:3], v[20:21], 0, -1
	v_writelane_b32 v252, s0, 6
	v_and_b32_e32 v20, 1, v4
	scratch_store_dwordx2 off, v[2:3], off offset:128 ; 8-byte Folded Spill
	v_writelane_b32 v252, s1, 7
	v_cmp_eq_u32_e64 s[0:1], 1, v20
	v_lshl_add_u64 v[2:3], v[20:21], 0, -1
	v_and_b32_e32 v20, 1, v5
	v_writelane_b32 v252, s0, 8
	scratch_store_dwordx2 off, v[2:3], off offset:136 ; 8-byte Folded Spill
	v_lshl_add_u64 v[2:3], v[20:21], 0, -1
	v_writelane_b32 v252, s1, 9
	v_cmp_eq_u32_e64 s[0:1], 1, v20
	s_waitcnt vmcnt(5)
	v_and_b32_e32 v20, 1, v6
	scratch_store_dwordx2 off, v[2:3], off offset:144 ; 8-byte Folded Spill
	v_writelane_b32 v252, s0, 10
	v_lshl_add_u64 v[2:3], v[20:21], 0, -1
	scratch_store_dwordx2 off, v[2:3], off offset:152 ; 8-byte Folded Spill
	v_writelane_b32 v252, s1, 11
	v_cmp_eq_u32_e64 s[0:1], 1, v20
	v_and_b32_e32 v20, 1, v7
	v_lshl_add_u64 v[2:3], v[20:21], 0, -1
	v_writelane_b32 v252, s0, 12
	scratch_store_dwordx2 off, v[2:3], off offset:160 ; 8-byte Folded Spill
	scratch_store_dword off, v0, off offset:352 ; 4-byte Folded Spill
	v_writelane_b32 v252, s1, 13
	v_cmp_eq_u32_e64 s[0:1], 1, v20
	v_and_b32_e32 v20, 1, v8
	v_lshl_add_u64 v[2:3], v[20:21], 0, -1
	v_writelane_b32 v252, s0, 14
	scratch_store_dwordx2 off, v[2:3], off offset:168 ; 8-byte Folded Spill
	v_lshlrev_b32_e32 v0, 2, v4
	v_writelane_b32 v252, s1, 15
	v_cmp_eq_u32_e64 s[0:1], 1, v20
	v_and_b32_e32 v20, 1, v9
	v_lshl_add_u64 v[2:3], v[20:21], 0, -1
	v_writelane_b32 v252, s0, 16
	scratch_store_dwordx2 off, v[2:3], off offset:176 ; 8-byte Folded Spill
	scratch_store_dword off, v0, off offset:356 ; 4-byte Folded Spill
	v_writelane_b32 v252, s1, 17
	v_cmp_eq_u32_e64 s[0:1], 1, v20
	s_waitcnt vmcnt(11)
	v_and_b32_e32 v20, 1, v14
	v_lshl_add_u64 v[2:3], v[20:21], 0, -1
	v_writelane_b32 v252, s0, 18
	scratch_store_dwordx2 off, v[2:3], off offset:184 ; 8-byte Folded Spill
	v_lshlrev_b32_e32 v0, 2, v5
	v_writelane_b32 v252, s1, 19
	v_cmp_eq_u32_e64 s[0:1], 1, v20
	v_and_b32_e32 v20, 1, v15
	v_lshl_add_u64 v[2:3], v[20:21], 0, -1
	v_writelane_b32 v252, s0, 20
	scratch_store_dwordx2 off, v[2:3], off offset:192 ; 8-byte Folded Spill
	scratch_store_dword off, v0, off offset:360 ; 4-byte Folded Spill
	v_writelane_b32 v252, s1, 21
	v_cmp_eq_u32_e64 s[0:1], 1, v20
	v_and_b32_e32 v20, 1, v16
	v_lshl_add_u64 v[2:3], v[20:21], 0, -1
	v_lshlrev_b32_e32 v0, 2, v6
	scratch_store_dwordx2 off, v[2:3], off offset:200 ; 8-byte Folded Spill
	v_lshlrev_b32_e32 v3, 25, v16
	scratch_store_dword off, v0, off offset:304 ; 4-byte Folded Spill
	v_lshlrev_b32_e32 v0, 2, v7
	scratch_store_dwordx2 off, v[2:3], off offset:48 ; 8-byte Folded Spill
	v_lshlrev_b32_e32 v3, 24, v16
	scratch_store_dword off, v0, off offset:308 ; 4-byte Folded Spill
	v_lshlrev_b32_e32 v0, 2, v8
	v_writelane_b32 v252, s0, 22
	scratch_store_dwordx2 off, v[2:3], off offset:32 ; 8-byte Folded Spill
	v_lshlrev_b32_e32 v3, 23, v16
	scratch_store_dword off, v0, off offset:312 ; 4-byte Folded Spill
	v_lshlrev_b32_e32 v0, 2, v9
	v_writelane_b32 v252, s1, 23
	v_cmp_eq_u32_e64 s[0:1], 1, v20
	scratch_store_dwordx2 off, v[2:3], off offset:16 ; 8-byte Folded Spill
	v_lshlrev_b32_e32 v3, 30, v17
	scratch_store_dword off, v0, off offset:316 ; 4-byte Folded Spill
	v_writelane_b32 v252, s0, 24
	v_and_b32_e32 v20, 1, v17
	v_lshlrev_b32_e32 v0, 2, v14
	scratch_store_dwordx2 off, v[2:3], off offset:8 ; 8-byte Folded Spill
	v_lshlrev_b32_e32 v3, 29, v17
	v_writelane_b32 v252, s1, 25
	scratch_store_dword off, v0, off offset:320 ; 4-byte Folded Spill
	v_lshlrev_b32_e32 v0, 2, v15
	scratch_store_dwordx2 off, v[2:3], off  ; 8-byte Folded Spill
	v_lshlrev_b32_e32 v3, 26, v17
	v_cmp_eq_u32_e64 s[0:1], 1, v20
	scratch_store_dword off, v0, off offset:324 ; 4-byte Folded Spill
	v_lshlrev_b32_e32 v0, 2, v16
	v_lshlrev_b32_e32 v87, 30, v14
	;; [unrolled: 1-line block ×17, first 2 shown]
	scratch_store_dwordx2 off, v[2:3], off offset:64 ; 8-byte Folded Spill
	v_lshlrev_b32_e32 v3, 25, v17
	v_writelane_b32 v252, s0, 26
	v_lshl_add_u64 v[14:15], v[20:21], 0, -1
	s_waitcnt vmcnt(26)
	v_and_b32_e32 v20, 1, v10
	scratch_store_dword off, v0, off offset:328 ; 4-byte Folded Spill
	v_lshlrev_b32_e32 v0, 2, v17
	scratch_store_dwordx2 off, v[2:3], off offset:56 ; 8-byte Folded Spill
	v_lshlrev_b32_e32 v3, 24, v17
	v_writelane_b32 v252, s1, 27
	v_cmp_eq_u32_e64 s[0:1], 1, v20
	v_lshlrev_b32_e32 v133, 30, v7
	v_lshlrev_b32_e32 v131, 29, v7
	v_lshlrev_b32_e32 v129, 28, v7
	v_lshlrev_b32_e32 v125, 27, v7
	v_lshlrev_b32_e32 v121, 26, v7
	v_lshlrev_b32_e32 v117, 25, v7
	v_lshlrev_b32_e32 v113, 24, v7
	v_lshlrev_b32_e32 v109, 23, v7
	v_lshlrev_b32_e32 v107, 30, v9
	v_lshlrev_b32_e32 v101, 29, v9
	v_lshlrev_b32_e32 v97, 28, v9
	v_lshlrev_b32_e32 v95, 27, v9
	v_lshlrev_b32_e32 v93, 26, v9
	v_lshlrev_b32_e32 v91, 25, v9
	v_lshlrev_b32_e32 v89, 24, v9
	v_lshlrev_b32_e32 v81, 23, v9
	scratch_store_dword off, v0, off offset:332 ; 4-byte Folded Spill
	v_lshlrev_b32_e32 v53, 30, v16
	v_lshlrev_b32_e32 v51, 29, v16
	;; [unrolled: 1-line block ×7, first 2 shown]
	scratch_store_dwordx2 off, v[2:3], off offset:40 ; 8-byte Folded Spill
	v_lshlrev_b32_e32 v3, 23, v17
	v_writelane_b32 v252, s0, 28
	v_lshl_add_u64 v[16:17], v[20:21], 0, -1
	v_and_b32_e32 v20, 1, v11
	v_lshlrev_b32_e32 v0, 2, v10
	v_writelane_b32 v252, s1, 29
	v_cmp_eq_u32_e64 s[0:1], 1, v20
	scratch_store_dword off, v0, off offset:336 ; 4-byte Folded Spill
	v_lshlrev_b32_e32 v0, 2, v11
	v_writelane_b32 v252, s0, 30
	v_lshl_add_u64 v[36:37], v[20:21], 0, -1
	v_and_b32_e32 v20, 1, v12
	scratch_store_dword off, v0, off offset:340 ; 4-byte Folded Spill
	v_lshlrev_b32_e32 v0, 2, v12
	v_writelane_b32 v252, s1, 31
	v_cmp_eq_u32_e64 s[0:1], 1, v20
	scratch_store_dword off, v0, off offset:344 ; 4-byte Folded Spill
	v_lshlrev_b32_e32 v0, 2, v13
	v_writelane_b32 v252, s0, 32
	scratch_store_dword off, v0, off offset:348 ; 4-byte Folded Spill
	v_mov_b32_e32 v0, v21
	v_writelane_b32 v252, s1, 33
	v_cmp_gt_i64_e64 s[0:1], 0, v[0:1]
	v_lshlrev_b32_e32 v231, 30, v4
	v_lshlrev_b32_e32 v229, 29, v4
	v_writelane_b32 v252, s0, 34
	v_lshlrev_b32_e32 v225, 28, v4
	v_lshlrev_b32_e32 v221, 27, v4
	v_writelane_b32 v252, s1, 35
	v_cmp_gt_i64_e64 s[0:1], 0, v[18:19]
	v_lshlrev_b32_e32 v219, 26, v4
	v_lshlrev_b32_e32 v217, 25, v4
	v_writelane_b32 v252, s0, 36
	v_lshlrev_b32_e32 v215, 24, v4
	v_lshlrev_b32_e32 v209, 23, v4
	;; [unrolled: 7-line block ×8, first 2 shown]
	v_writelane_b32 v252, s1, 49
	v_cmp_gt_i64_e64 s[0:1], 0, v[44:45]
	v_not_b32_e32 v136, v1
	v_not_b32_e32 v1, v101
	v_writelane_b32 v252, s0, 50
	scratch_store_dwordx2 off, v[30:31], off offset:120 ; 8-byte Folded Spill
	v_lshl_add_u64 v[38:39], v[20:21], 0, -1
	v_writelane_b32 v252, s1, 51
	v_cmp_gt_i64_e64 s[0:1], 0, v[46:47]
	v_and_b32_e32 v20, 1, v13
	v_lshlrev_b32_e32 v213, 30, v11
	v_writelane_b32 v252, s0, 52
	v_lshlrev_b32_e32 v211, 29, v11
	v_lshlrev_b32_e32 v201, 28, v11
	v_writelane_b32 v252, s1, 53
	v_cmp_gt_i64_e64 s[0:1], 0, v[248:249]
	v_lshlrev_b32_e32 v199, 27, v11
	v_lshlrev_b32_e32 v189, 26, v11
	v_writelane_b32 v252, s0, 54
	v_lshlrev_b32_e32 v187, 25, v11
	v_lshlrev_b32_e32 v179, 24, v11
	v_writelane_b32 v252, s1, 55
	v_cmp_gt_i64_e64 s[0:1], 0, v[246:247]
	v_lshlrev_b32_e32 v171, 23, v11
	v_lshlrev_b32_e32 v149, 30, v13
	v_writelane_b32 v252, s0, 56
	v_lshlrev_b32_e32 v153, 29, v13
	v_lshlrev_b32_e32 v157, 28, v13
	v_writelane_b32 v252, s1, 57
	v_cmp_gt_i64_e64 s[0:1], 0, v[242:243]
	v_lshlrev_b32_e32 v161, 27, v13
	v_lshlrev_b32_e32 v165, 26, v13
	v_writelane_b32 v252, s0, 58
	v_lshlrev_b32_e32 v169, 25, v13
	v_lshlrev_b32_e32 v173, 24, v13
	v_writelane_b32 v252, s1, 59
	v_cmp_gt_i64_e64 s[0:1], 0, v[238:239]
	v_lshlrev_b32_e32 v11, 23, v13
	v_not_b32_e32 v146, v29
	v_writelane_b32 v252, s0, 60
	v_not_b32_e32 v44, v117
	v_not_b32_e32 v29, v105
	v_writelane_b32 v252, s1, 61
	v_cmp_gt_i64_e64 s[0:1], 0, v[236:237]
	v_not_b32_e32 v28, v103
	v_not_b32_e32 v26, v99
	v_writelane_b32 v252, s0, 62
	v_not_b32_e32 v13, v111
	scratch_load_dword v30, off, off offset:208 ; 4-byte Folded Reload
	v_writelane_b32 v252, s1, 63
	v_cmp_gt_i64_e64 s[0:1], 0, v[234:235]
	v_mov_b32_e32 v64, v21
	v_mov_b32_e32 v62, v21
	v_writelane_b32 v253, s0, 0
	v_mov_b32_e32 v60, v21
	v_mov_b32_e32 v58, v21
	v_writelane_b32 v253, s1, 1
	v_cmp_gt_i64_e64 s[0:1], 0, v[230:231]
	v_mov_b32_e32 v56, v21
	v_mov_b32_e32 v54, v21
	v_writelane_b32 v253, s0, 2
                                        ; implicit-def: $vgpr255 : SGPR spill to VGPR lane
	scratch_store_dwordx2 off, v[2:3], off offset:24 ; 8-byte Folded Spill
	v_not_b32_e32 v142, v25
	v_writelane_b32 v253, s1, 3
	v_cmp_gt_i64_e64 s[0:1], 0, v[228:229]
	v_not_b32_e32 v168, v239
	v_not_b32_e32 v178, v231
	v_writelane_b32 v253, s0, 4
	v_mov_b32_e32 v52, v21
	v_mov_b32_e32 v34, v21
	v_writelane_b32 v253, s1, 5
	v_cmp_gt_i64_e64 s[0:1], 0, v[224:225]
	v_lshlrev_b32_e32 v163, 30, v12
	v_lshlrev_b32_e32 v155, 29, v12
	v_writelane_b32 v253, s0, 6
	v_lshlrev_b32_e32 v137, 28, v12
	v_lshlrev_b32_e32 v139, 27, v12
	v_writelane_b32 v253, s1, 7
	v_cmp_gt_i64_e64 s[0:1], 0, v[220:221]
	v_lshlrev_b32_e32 v141, 26, v12
	v_lshlrev_b32_e32 v143, 25, v12
	v_writelane_b32 v253, s0, 8
	v_lshlrev_b32_e32 v145, 24, v12
	v_lshlrev_b32_e32 v147, 23, v12
	v_writelane_b32 v253, s1, 9
	v_cmp_gt_i64_e64 s[0:1], 0, v[218:219]
	v_not_b32_e32 v138, v19
	v_not_b32_e32 v148, v41
	v_writelane_b32 v253, s0, 10
	v_not_b32_e32 v162, v247
	v_not_b32_e32 v41, v109
	v_writelane_b32 v253, s1, 11
	v_cmp_gt_i64_e64 s[0:1], 0, v[216:217]
	v_not_b32_e32 v19, v119
	v_not_b32_e32 v0, v107
	v_writelane_b32 v253, s0, 12
	v_not_b32_e32 v12, v97
	v_not_b32_e32 v46, v85
	v_writelane_b32 v253, s1, 13
	v_cmp_gt_i64_e64 s[0:1], 0, v[214:215]
	v_mov_b32_e32 v6, v21
	v_not_b32_e32 v152, v43
	v_writelane_b32 v253, s0, 14
	v_not_b32_e32 v216, v217
	v_not_b32_e32 v43, v113
	v_writelane_b32 v253, s1, 15
	v_cmp_gt_i64_e64 s[0:1], 0, v[208:209]
	v_mov_b32_e32 v50, v21
	v_cmp_gt_i64_e64 s[98:99], 0, v[6:7]
	v_writelane_b32 v253, s0, 16
	v_not_b32_e32 v218, v219
	v_mov_b32_e32 v8, v21
	v_writelane_b32 v253, s1, 17
	v_cmp_gt_i64_e64 s[0:1], 0, v[206:207]
	v_not_b32_e32 v140, v23
	v_not_b32_e32 v164, v243
	v_writelane_b32 v253, s0, 18
	v_not_b32_e32 v42, v87
	s_movk_i32 s33, 0x140
	v_writelane_b32 v253, s1, 19
	v_cmp_gt_i64_e64 s[0:1], 0, v[204:205]
	v_not_b32_e32 v31, v81
	v_not_b32_e32 v18, v115
	v_writelane_b32 v253, s0, 20
	v_mov_b32_e32 v48, v21
	v_not_b32_e32 v214, v215
	v_writelane_b32 v253, s1, 21
	v_cmp_gt_i64_e64 s[0:1], 0, v[202:203]
	s_waitcnt vmcnt(1)
	v_lshlrev_b32_e32 v40, 2, v30
	scratch_store_dword off, v40, off offset:368 ; 4-byte Folded Spill
	v_writelane_b32 v253, s0, 22
	v_ashrrev_i32_e32 v40, 31, v136
	v_cmp_gt_u32_e64 s[92:93], s33, v30
	v_writelane_b32 v253, s1, 23
	v_cmp_gt_i64_e64 s[0:1], 0, v[196:197]
	v_cmp_gt_i64_e64 s[96:97], 0, v[48:49]
	v_not_b32_e32 v48, v33
	v_writelane_b32 v253, s0, 24
	v_not_b32_e32 v156, v47
	v_not_b32_e32 v47, v83
	v_writelane_b32 v253, s1, 25
	v_cmp_gt_i64_e64 s[0:1], 0, v[194:195]
	v_not_b32_e32 v144, v27
	v_not_b32_e32 v170, v237
	v_writelane_b32 v253, s0, 26
	v_not_b32_e32 v172, v235
	v_not_b32_e32 v154, v45
	v_writelane_b32 v253, s1, 27
	v_cmp_gt_i64_e64 s[0:1], 0, v[192:193]
	v_not_b32_e32 v192, v193
	v_not_b32_e32 v160, v249
	v_writelane_b32 v253, s0, 28
	v_not_b32_e32 v208, v209
	v_mov_b32_e32 v212, v21
	v_writelane_b32 v253, s1, 29
	v_cmp_gt_i64_e64 s[0:1], 0, v[190:191]
	v_mov_b32_e32 v210, v21
	v_not_b32_e32 v224, v225
	v_writelane_b32 v253, s0, 30
	v_not_b32_e32 v202, v203
	v_not_b32_e32 v27, v89
	v_writelane_b32 v253, s1, 31
	v_cmp_gt_i64_e64 s[0:1], 0, v[184:185]
	v_mov_b32_e32 v188, v21
	v_cmp_gt_i64_e64 s[42:43], 0, v[212:213]
	v_writelane_b32 v253, s0, 32
	v_cmp_gt_i64_e64 s[44:45], 0, v[210:211]
	v_cmp_gt_i64_e64 s[50:51], 0, v[188:189]
	v_writelane_b32 v253, s1, 33
	v_cmp_gt_i64_e64 s[0:1], 0, v[182:183]
	v_not_b32_e32 v182, v183
	v_lshlrev_b32_e32 v3, 30, v10
	v_writelane_b32 v253, s0, 34
	v_not_b32_e32 v204, v205
	v_lshlrev_b32_e32 v227, 24, v10
	v_writelane_b32 v253, s1, 35
	v_cmp_gt_i64_e64 s[0:1], 0, v[180:181]
	v_not_b32_e32 v180, v181
	v_not_b32_e32 v184, v185
	v_writelane_b32 v253, s0, 36
	v_not_b32_e32 v25, v91
	v_mov_b32_e32 v226, v21
	v_writelane_b32 v253, s1, 37
	v_cmp_gt_i64_e64 s[0:1], 0, v[176:177]
	v_mov_b32_e32 v200, v21
	v_cmp_gt_i64_e64 s[38:39], 0, v[226:227]
	v_writelane_b32 v253, s0, 38
	v_cmp_gt_i64_e64 s[46:47], 0, v[200:201]
	v_lshlrev_b32_e32 v251, 28, v10
	v_writelane_b32 v253, s1, 39
	v_cmp_gt_i64_e64 s[0:1], 0, v[174:175]
	v_mov_b32_e32 v32, v21
	v_cmp_gt_i64_e64 s[12:13], 0, v[32:33]
	v_writelane_b32 v253, s0, 40
	v_not_b32_e32 v33, v251
	v_ashrrev_i32_e32 v230, 31, v33
	v_writelane_b32 v253, s1, 41
	v_cmp_gt_i64_e64 s[0:1], 0, v[166:167]
	v_not_b32_e32 v166, v167
	v_lshlrev_b32_e32 v241, 26, v10
	v_writelane_b32 v253, s0, 42
	v_lshlrev_b32_e32 v245, 27, v10
	v_lshlrev_b32_e32 v233, 25, v10
	v_writelane_b32 v253, s1, 43
	v_cmp_gt_i64_e64 s[0:1], 0, v[158:159]
	v_not_b32_e32 v22, v95
	v_mov_b32_e32 v232, v21
	v_writelane_b32 v253, s0, 44
	v_cmp_gt_i64_e64 s[36:37], 0, v[232:233]
	v_not_b32_e32 v23, v93
	v_writelane_b32 v253, s1, 45
	v_cmp_gt_i64_e64 s[0:1], 0, v[150:151]
	v_not_b32_e32 v150, v151
	v_mov_b32_e32 v198, v21
	v_writelane_b32 v253, s0, 46
	v_cmp_gt_i64_e64 s[48:49], 0, v[198:199]
	v_not_b32_e32 v196, v197
	v_writelane_b32 v253, s1, 47
	v_cmp_gt_i64_e64 s[0:1], 0, v[134:135]
	v_not_b32_e32 v134, v135
	v_lshlrev_b32_e32 v5, 29, v10
	v_writelane_b32 v253, s0, 48
	v_lshlrev_b32_e32 v223, 23, v10
	v_not_b32_e32 v45, v121
	v_writelane_b32 v253, s1, 49
	v_cmp_gt_i64_e64 s[0:1], 0, v[132:133]
	v_not_b32_e32 v132, v133
	v_not_b32_e32 v10, v123
	v_writelane_b32 v253, s0, 50
	v_mov_b32_e32 v2, v21
	v_mov_b32_e32 v4, v21
	v_writelane_b32 v253, s1, 51
	v_cmp_gt_i64_e64 s[0:1], 0, v[130:131]
	v_not_b32_e32 v130, v131
	v_not_b32_e32 v228, v229
	v_writelane_b32 v253, s0, 52
	v_not_b32_e32 v220, v221
	v_not_b32_e32 v206, v207
	v_writelane_b32 v253, s1, 53
	v_cmp_gt_i64_e64 s[0:1], 0, v[128:129]
	v_not_b32_e32 v128, v129
	v_not_b32_e32 v194, v195
	v_writelane_b32 v253, s0, 54
	v_not_b32_e32 v190, v191
	v_not_b32_e32 v176, v177
	;; [unrolled: 7-line block ×3, first 2 shown]
	v_writelane_b32 v253, s1, 57
	v_cmp_gt_i64_e64 s[0:1], 0, v[120:121]
	v_ashrrev_i32_e32 v120, 31, v128
	v_ashrrev_i32_e32 v128, 31, v43
	v_writelane_b32 v253, s0, 58
	v_not_b32_e32 v43, v147
	v_ashrrev_i32_e32 v30, 31, v43
	v_writelane_b32 v253, s1, 59
	v_cmp_gt_i64_e64 s[0:1], 0, v[116:117]
	scratch_load_dwordx2 v[116:117], off, off offset:64 ; 8-byte Folded Reload
	s_waitcnt vmcnt(0)
	v_mov_b32_e32 v116, v21
	v_writelane_b32 v253, s0, 60
	v_mov_b32_e32 v250, v21
	v_mov_b32_e32 v244, v21
	v_writelane_b32 v253, s1, 61
	v_cmp_gt_i64_e64 s[0:1], 0, v[112:113]
	v_mov_b32_e32 v240, v21
	v_mov_b32_e32 v222, v21
	v_writelane_b32 v253, s0, 62
	v_mov_b32_e32 v186, v21
	v_cmp_gt_i64_e64 s[24:25], 0, v[2:3]
	v_writelane_b32 v253, s1, 63
	v_cmp_gt_i64_e64 s[0:1], 0, v[108:109]
	scratch_load_dwordx2 v[108:109], off, off offset:24 ; 8-byte Folded Reload
	v_not_b32_e32 v2, v213
	v_writelane_b32 v254, s0, 0
	v_cmp_gt_i64_e64 s[26:27], 0, v[4:5]
	v_not_b32_e32 v4, v201
	v_writelane_b32 v254, s1, 1
	v_cmp_gt_i64_e64 s[0:1], 0, v[104:105]
	scratch_load_dwordx2 v[104:105], off, off offset:48 ; 8-byte Folded Reload
	s_waitcnt vmcnt(0)
	v_mov_b32_e32 v104, v21
	v_writelane_b32 v254, s0, 2
	v_mov_b32_e32 v136, v21
	v_cmp_gt_i64_e64 s[28:29], 0, v[250:251]
	v_writelane_b32 v254, s1, 3
	v_cmp_gt_i64_e64 s[0:1], 0, v[102:103]
	scratch_load_dwordx2 v[102:103], off, off offset:32 ; 8-byte Folded Reload
	v_cmp_gt_i64_e64 s[30:31], 0, v[244:245]
	v_writelane_b32 v254, s0, 4
	v_cmp_gt_i64_e64 s[34:35], 0, v[240:241]
	v_cmp_gt_i64_e64 s[40:41], 0, v[222:223]
	v_writelane_b32 v254, s1, 5
	v_cmp_gt_i64_e64 s[0:1], 0, v[98:99]
	v_cmp_gt_i64_e64 s[52:53], 0, v[186:187]
	;; [unrolled: 1-line block ×3, first 2 shown]
	v_writelane_b32 v254, s0, 6
	v_ashrrev_i32_e32 v136, 31, v26
	v_ashrrev_i32_e32 v242, 31, v2
	v_writelane_b32 v254, s1, 7
	v_cmp_gt_i64_e64 s[0:1], 0, v[126:127]
	v_ashrrev_i32_e32 v126, 31, v44
	v_not_b32_e32 v44, v145
	v_writelane_b32 v254, s0, 8
	v_ashrrev_i32_e32 v246, 31, v4
	s_movk_i32 s33, 0x64
	v_writelane_b32 v254, s1, 9
	v_cmp_gt_i64_e64 s[0:1], 0, v[122:123]
	v_ashrrev_i32_e32 v122, 31, v124
	v_ashrrev_i32_e32 v124, 31, v45
	v_writelane_b32 v254, s0, 10
	v_not_b32_e32 v45, v143
	v_cmp_eq_u32_e64 s[90:91], 1, v20
	v_writelane_b32 v254, s1, 11
	v_cmp_gt_i64_e64 s[0:1], 0, v[118:119]
	v_ashrrev_i32_e32 v118, 31, v130
	v_ashrrev_i32_e32 v130, 31, v41
	v_writelane_b32 v254, s0, 12
	v_not_b32_e32 v119, v71
	v_mov_b32_e32 v121, v124
	v_writelane_b32 v254, s1, 13
	v_cmp_gt_i64_e64 s[0:1], 0, v[114:115]
	scratch_load_dwordx2 v[114:115], off, off offset:56 ; 8-byte Folded Reload
	v_mov_b32_e32 v123, v126
	v_writelane_b32 v254, s0, 14
	v_mov_b32_e32 v125, v128
	v_mov_b32_e32 v127, v130
	v_writelane_b32 v254, s1, 15
	v_cmp_gt_i64_e64 s[0:1], 0, v[110:111]
	scratch_load_dwordx2 v[110:111], off, off offset:40 ; 8-byte Folded Reload
	scratch_load_dwordx2 v[98:99], off, off offset:8 ; 8-byte Folded Reload
	v_writelane_b32 v254, s0, 16
	s_waitcnt vmcnt(1)
	v_mov_b32_e32 v110, v21
	v_mov_b32_e32 v133, v136
	v_writelane_b32 v254, s1, 17
	v_cmp_gt_i64_e64 s[0:1], 0, v[106:107]
	v_mov_b32_e32 v229, v230
	v_mov_b64_e32 v[112:113], v[104:105]
	v_writelane_b32 v254, s0, 18
	v_cmp_gt_i64_e64 s[2:3], 0, v[112:113]
	v_ashrrev_i32_e32 v112, 31, v150
	v_writelane_b32 v254, s1, 19
	v_cmp_gt_i64_e64 s[0:1], 0, v[100:101]
	scratch_load_dwordx2 v[100:101], off, off offset:16 ; 8-byte Folded Reload
	s_waitcnt vmcnt(0)
	v_mov_b32_e32 v100, v21
	v_writelane_b32 v254, s0, 20
	v_ashrrev_i32_e32 v150, 31, v1
	v_not_b32_e32 v113, v165
	v_writelane_b32 v254, s1, 21
	v_cmp_gt_i64_e64 s[0:1], 0, v[96:97]
	scratch_load_dwordx2 v[96:97], off, off ; 8-byte Folded Reload
	v_mov_b32_e32 v98, v21
	v_writelane_b32 v254, s0, 22
	scratch_store_dwordx2 off, v[40:41], off ; 8-byte Folded Spill
	v_ashrrev_i32_e32 v40, 31, v138
	v_writelane_b32 v254, s1, 23
	v_cmp_gt_i64_e64 s[0:1], 0, v[94:95]
	scratch_store_dwordx2 off, v[40:41], off offset:8 ; 8-byte Folded Spill
	v_not_b32_e32 v41, v149
	v_writelane_b32 v254, s0, 24
	v_ashrrev_i32_e32 v94, 31, v192
	s_waitcnt vmcnt(2)
	v_mov_b32_e32 v96, v21
	v_writelane_b32 v254, s1, 25
	v_cmp_gt_i64_e64 s[0:1], 0, v[92:93]
	v_not_b32_e32 v40, v67
	v_not_b32_e32 v95, v73
	v_writelane_b32 v254, s0, 26
	v_not_b32_e32 v93, v77
	v_mov_b32_e32 v138, v21
	v_writelane_b32 v254, s1, 27
	v_cmp_gt_i64_e64 s[0:1], 0, v[90:91]
	v_not_b32_e32 v91, v79
	v_ashrrev_i32_e32 v90, 31, v196
	v_writelane_b32 v254, s0, 28
	v_ashrrev_i32_e32 v92, 31, v194
	v_cmp_gt_i64_e64 s[64:65], 0, v[138:139]
	v_writelane_b32 v254, s1, 29
	v_cmp_gt_i64_e64 s[0:1], 0, v[88:89]
	v_not_b32_e32 v89, v75
	v_ashrrev_i32_e32 v88, 31, v202
	v_writelane_b32 v254, s0, 30
	v_ashrrev_i32_e32 v138, 31, v24
	v_mov_b32_e32 v135, v138
	v_writelane_b32 v254, s1, 31
	v_cmp_gt_i64_e64 s[0:1], 0, v[80:81]
	v_ashrrev_i32_e32 v80, 31, v140
	scratch_store_dwordx2 off, v[80:81], off offset:16 ; 8-byte Folded Spill
	v_writelane_b32 v254, s0, 32
	v_mov_b32_e32 v140, v21
	v_cmp_gt_i64_e64 s[66:67], 0, v[140:141]
	v_writelane_b32 v254, s1, 33
	v_cmp_gt_i64_e64 s[0:1], 0, v[86:87]
	v_not_b32_e32 v87, v69
	v_ashrrev_i32_e32 v86, 31, v204
	v_writelane_b32 v254, s0, 34
	v_ashrrev_i32_e32 v140, 31, v10
	v_mov_b32_e32 v10, v21
	v_writelane_b32 v254, s1, 35
	v_cmp_gt_i64_e64 s[0:1], 0, v[84:85]
	v_ashrrev_i32_e32 v84, 31, v206
	v_cmp_gt_i64_e64 s[88:89], 0, v[10:11]
	v_writelane_b32 v254, s0, 36
	v_not_b32_e32 v85, v101
	s_nop 0
	v_writelane_b32 v254, s1, 37
	v_cmp_gt_i64_e64 s[0:1], 0, v[82:83]
	v_mov_b64_e32 v[106:107], v[100:101]
	v_mov_b64_e32 v[100:101], v[34:35]
	v_writelane_b32 v254, s0, 38
	v_not_b32_e32 v6, v101
	v_not_b32_e32 v83, v65
	v_writelane_b32 v254, s1, 39
	v_cmp_gt_i64_e64 s[0:1], 0, v[78:79]
	v_ashrrev_i32_e32 v78, 31, v142
	v_mov_b32_e32 v142, v21
	v_writelane_b32 v254, s0, 40
	v_cmp_gt_i64_e64 s[68:69], 0, v[142:143]
	v_ashrrev_i32_e32 v142, 31, v19
	v_writelane_b32 v254, s1, 41
	v_cmp_gt_i64_e64 s[0:1], 0, v[76:77]
	v_not_b32_e32 v19, v173
	v_cmp_gt_i64_e64 s[14:15], 0, v[100:101]
	v_writelane_b32 v254, s0, 42
	v_ashrrev_i32_e32 v100, 31, v182
	v_ashrrev_i32_e32 v182, 31, v83
	v_writelane_b32 v254, s1, 43
	v_cmp_gt_i64_e64 s[0:1], 0, v[74:75]
	scratch_load_dword v83, off, off offset:360 ; 4-byte Folded Reload
	v_ashrrev_i32_e32 v76, 31, v144
	v_writelane_b32 v254, s0, 44
	v_ashrrev_i32_e32 v74, 31, v146
	v_ashrrev_i32_e32 v82, 31, v208
	v_writelane_b32 v254, s1, 45
	v_cmp_gt_i64_e64 s[0:1], 0, v[72:73]
	v_ashrrev_i32_e32 v72, 31, v148
	scratch_store_dwordx2 off, v[72:73], off offset:40 ; 8-byte Folded Spill
	v_writelane_b32 v254, s0, 46
	v_ashrrev_i32_e32 v72, 31, v216
	v_ashrrev_i32_e32 v216, 31, v6
	v_writelane_b32 v254, s1, 47
	v_cmp_gt_i64_e64 s[0:1], 0, v[70:71]
	v_ashrrev_i32_e32 v6, 31, v19
	v_ashrrev_i32_e32 v70, 31, v152
	v_writelane_b32 v254, s0, 48
	v_mov_b32_e32 v148, v21
	scratch_store_dwordx2 off, v[70:71], off offset:48 ; 8-byte Folded Spill
	v_writelane_b32 v254, s1, 49
	v_cmp_gt_i64_e64 s[0:1], 0, v[68:69]
	v_not_b32_e32 v70, v55
	v_cmp_gt_i64_e64 s[74:75], 0, v[148:149]
	v_writelane_b32 v254, s0, 50
	v_ashrrev_i32_e32 v148, 31, v0
	v_ashrrev_i32_e32 v0, 31, v87
	v_writelane_b32 v254, s1, 51
	v_cmp_gt_i64_e64 s[0:1], 0, v[66:67]
	v_ashrrev_i32_e32 v192, 31, v70
	v_mov_b32_e32 v70, v30
	v_writelane_b32 v254, s0, 52
	v_ashrrev_i32_e32 v68, 31, v154
	scratch_store_dwordx2 off, v[68:69], off offset:64 ; 8-byte Folded Spill
	v_writelane_b32 v254, s1, 53
	v_cmp_gt_i64_e64 s[0:1], 0, v[64:65]
	v_ashrrev_i32_e32 v64, 31, v160
	scratch_store_dwordx2 off, v[64:65], off offset:80 ; 8-byte Folded Spill
	v_writelane_b32 v254, s0, 54
	v_not_b32_e32 v64, v49
	v_ashrrev_i32_e32 v66, 31, v156
	v_writelane_b32 v254, s1, 55
	v_cmp_gt_i64_e64 s[0:1], 0, v[62:63]
	v_ashrrev_i32_e32 v62, 31, v162
	scratch_store_dwordx2 off, v[62:63], off offset:88 ; 8-byte Folded Spill
	v_writelane_b32 v254, s0, 56
	v_not_b32_e32 v62, v7
	v_mov_b32_e32 v162, v21
	v_writelane_b32 v254, s1, 57
	v_cmp_gt_i64_e64 s[0:1], 0, v[60:61]
	v_ashrrev_i32_e32 v60, 31, v164
	v_mov_b32_e32 v164, v21
	v_writelane_b32 v254, s0, 58
	v_cmp_gt_i64_e64 s[58:59], 0, v[162:163]
	v_ashrrev_i32_e32 v162, 31, v31
	v_writelane_b32 v254, s1, 59
	v_cmp_gt_i64_e64 s[0:1], 0, v[58:59]
	v_ashrrev_i32_e32 v58, 31, v168
	scratch_store_dwordx2 off, v[58:59], off offset:104 ; 8-byte Folded Spill
	v_writelane_b32 v254, s0, 60
	v_not_b32_e32 v58, v105
	v_mov_b64_e32 v[104:105], v[98:99]
	v_writelane_b32 v254, s1, 61
	v_cmp_gt_i64_e64 s[0:1], 0, v[56:57]
	v_cmp_gt_i64_e64 s[82:83], 0, v[164:165]
	v_ashrrev_i32_e32 v164, 31, v42
	v_writelane_b32 v254, s0, 62
	v_ashrrev_i32_e32 v42, 31, v41
	v_mov_b32_e32 v41, v30
	v_writelane_b32 v254, s1, 63
	v_cmp_gt_i64_e64 s[0:1], 0, v[54:55]
	v_ashrrev_i32_e32 v56, 31, v170
	scratch_store_dwordx2 off, v[56:57], off offset:112 ; 8-byte Folded Spill
	v_writelane_b32 v255, s0, 0
	v_ashrrev_i32_e32 v54, 31, v172
	scratch_store_dwordx2 off, v[54:55], off offset:372 ; 8-byte Folded Spill
	v_writelane_b32 v255, s1, 1
	v_cmp_gt_i64_e64 s[0:1], 0, v[52:53]
	v_ashrrev_i32_e32 v52, 31, v178
	scratch_store_dwordx2 off, v[52:53], off offset:380 ; 8-byte Folded Spill
	v_writelane_b32 v255, s0, 2
	v_not_b32_e32 v52, v99
	v_mov_b64_e32 v[98:99], v[116:117]
	v_writelane_b32 v255, s1, 3
	v_cmp_gt_i64_e64 s[0:1], 0, v[50:51]
	v_not_b32_e32 v7, v99
	v_not_b32_e32 v117, v11
	v_writelane_b32 v255, s0, 4
	scratch_store_dwordx2 off, v[6:7], off offset:396 ; 8-byte Folded Spill
	v_ashrrev_i32_e32 v6, 31, v117
	v_writelane_b32 v255, s1, 5
	v_cmp_gt_i64_e64 s[0:1], 0, v[8:9]
	v_ashrrev_i32_e32 v8, 31, v218
	v_ashrrev_i32_e32 v218, 31, v7
	scratch_store_dwordx2 off, v[6:7], off offset:404 ; 8-byte Folded Spill
	scratch_load_dwordx2 v[6:7], off, off   ; 8-byte Folded Reload
	v_mov_b32_e32 v108, v21
	scratch_load_dwordx2 v[30:31], off, off offset:396 ; 8-byte Folded Reload
	v_not_b32_e32 v50, v97
	scratch_store_dwordx2 off, v[78:79], off offset:24 ; 8-byte Folded Spill
	v_mov_b64_e32 v[54:55], v[110:111]
	v_mov_b64_e32 v[34:35], v[108:109]
	v_not_b32_e32 v109, v157
	v_not_b32_e32 v111, v161
	scratch_store_dwordx2 off, v[60:61], off offset:96 ; 8-byte Folded Spill
	v_not_b32_e32 v60, v9
	v_not_b32_e32 v49, v35
	v_ashrrev_i32_e32 v108, 31, v166
	v_ashrrev_i32_e32 v116, 31, v132
	;; [unrolled: 1-line block ×3, first 2 shown]
	v_not_b32_e32 v29, v153
	v_mov_b32_e32 v168, v21
	v_ashrrev_i32_e32 v166, 31, v46
	v_ashrrev_i32_e32 v210, 31, v52
	;; [unrolled: 1-line block ×6, first 2 shown]
	v_cmp_gt_i64_e64 s[84:85], 0, v[168:169]
	v_ashrrev_i32_e32 v168, 31, v47
	v_ashrrev_i32_e32 v202, 31, v60
	v_mov_b32_e32 v60, v82
	v_mov_b32_e32 v47, v46
	v_not_b32_e32 v79, v63
	scratch_store_dwordx2 off, v[66:67], off offset:72 ; 8-byte Folded Spill
	v_not_b32_e32 v66, v51
	v_not_b32_e32 v51, v3
	v_cmp_gt_i64_e64 s[16:17], 0, v[98:99]
	v_ashrrev_i32_e32 v98, 31, v184
	v_ashrrev_i32_e32 v184, 31, v79
	;; [unrolled: 1-line block ×4, first 2 shown]
	v_mov_b32_e32 v62, v86
	v_mov_b32_e32 v79, v86
	v_not_b32_e32 v73, v57
	v_not_b32_e32 v57, v245
	v_ashrrev_i32_e32 v232, 31, v57
	v_ashrrev_i32_e32 v198, 31, v64
	scratch_store_dwordx2 off, v[8:9], off offset:388 ; 8-byte Folded Spill
	v_cmp_gt_i64_e64 s[22:23], 0, v[34:35]
	v_ashrrev_i32_e32 v196, 31, v66
	v_not_b32_e32 v68, v53
	v_not_b32_e32 v9, v55
	v_cmp_gt_i64_e64 s[6:7], 0, v[106:107]
	v_cmp_gt_i64_e64 s[8:9], 0, v[104:105]
	v_not_b32_e32 v53, v5
	v_not_b32_e32 v63, v227
	;; [unrolled: 1-line block ×6, first 2 shown]
	v_mov_b32_e32 v178, v21
	v_not_b32_e32 v69, v187
	v_mov_b32_e32 v170, v21
	v_not_b32_e32 v71, v179
	;; [unrolled: 2-line block ×3, first 2 shown]
	v_not_b32_e32 v101, v155
	v_not_b32_e32 v105, v139
	v_mov_b32_e32 v144, v21
	v_not_b32_e32 v107, v141
	v_mov_b32_e32 v146, v21
	v_mov_b32_e32 v152, v21
	;; [unrolled: 1-line block ×5, first 2 shown]
	v_ashrrev_i32_e32 v78, 31, v220
	v_cmp_gt_i64_e64 s[20:21], 0, v[54:55]
	v_ashrrev_i32_e32 v104, 31, v176
	v_ashrrev_i32_e32 v106, 31, v174
	;; [unrolled: 1-line block ×3, first 2 shown]
	v_cmp_gt_i64_e64 s[54:55], 0, v[178:179]
	v_cmp_gt_i64_e64 s[56:57], 0, v[170:171]
	;; [unrolled: 1-line block ×4, first 2 shown]
	s_waitcnt vmcnt(5)
	v_mov_b32_e32 v1, v6
	scratch_load_dwordx2 v[6:7], off, off offset:8 ; 8-byte Folded Reload
	v_mov_b32_e32 v102, v21
	scratch_store_dwordx2 off, v[0:1], off offset:208 ; 8-byte Folded Spill
	v_mov_b64_e32 v[80:81], v[102:103]
	v_cmp_gt_i64_e64 s[4:5], 0, v[80:81]
	scratch_load_dword v81, off, off offset:364 ; 4-byte Folded Reload
	v_ashrrev_i32_e32 v80, 31, v214
	v_ashrrev_i32_e32 v214, 31, v48
	scratch_load_dword v48, off, off offset:352 ; 4-byte Folded Reload
	v_not_b32_e32 v56, v103
	scratch_store_dwordx2 off, v[76:77], off offset:32 ; 8-byte Folded Spill
	v_mov_b64_e32 v[102:103], v[96:97]
	v_cmp_gt_i64_e64 s[10:11], 0, v[102:103]
	v_ashrrev_i32_e32 v102, 31, v180
	v_ashrrev_i32_e32 v180, 31, v40
	scratch_load_dword v40, off, off offset:356 ; 4-byte Folded Reload
	v_ashrrev_i32_e32 v76, 31, v224
	v_ashrrev_i32_e32 v224, 31, v49
	v_mov_b32_e32 v49, v50
	s_waitcnt vmcnt(10)
	v_mov_b32_e32 v86, v30
	v_mov_b32_e32 v51, v30
	scratch_load_dwordx2 v[30:31], off, off offset:404 ; 8-byte Folded Reload
	v_not_b32_e32 v77, v61
	v_not_b32_e32 v61, v233
	v_ashrrev_i32_e32 v236, 31, v61
	v_not_b32_e32 v103, v137
	v_ashrrev_i32_e32 v144, 31, v18
	v_cmp_gt_i64_e64 s[72:73], 0, v[146:147]
	v_ashrrev_i32_e32 v146, 31, v13
	v_cmp_gt_i64_e64 s[76:77], 0, v[152:153]
	v_ashrrev_i32_e32 v152, 31, v12
	v_ashrrev_i32_e32 v154, 31, v22
	v_cmp_gt_i64_e64 s[78:79], 0, v[156:157]
	v_ashrrev_i32_e32 v156, 31, v23
	;; [unrolled: 3-line block ×4, first 2 shown]
	v_ashrrev_i32_e32 v174, 31, v89
	v_ashrrev_i32_e32 v176, 31, v95
	;; [unrolled: 1-line block ×21, first 2 shown]
	v_mov_b32_e32 v65, v76
	v_mov_b32_e32 v67, v78
	;; [unrolled: 1-line block ×19, first 2 shown]
	s_waitcnt vmcnt(6)
	v_mov_b32_e32 v1, v6
	scratch_load_dwordx2 v[6:7], off, off offset:16 ; 8-byte Folded Reload
	v_mov_b32_e32 v114, v21
	scratch_store_dwordx2 off, v[0:1], off offset:216 ; 8-byte Folded Spill
	scratch_store_dwordx2 off, v[74:75], off offset:56 ; 8-byte Folded Spill
	v_not_b32_e32 v75, v59
	v_mov_b64_e32 v[96:97], v[114:115]
	v_ashrrev_i32_e32 v114, 31, v134
	v_ashrrev_i32_e32 v134, 31, v28
	;; [unrolled: 1-line block ×5, first 2 shown]
	v_mov_b32_e32 v75, v82
	v_mov_b32_e32 v82, v46
	;; [unrolled: 1-line block ×5, first 2 shown]
	scratch_load_dword v50, off, off offset:368 ; 4-byte Folded Reload
	v_not_b32_e32 v59, v241
	v_ashrrev_i32_e32 v234, 31, v59
	v_not_b32_e32 v8, v97
	v_cmp_gt_i64_e64 s[18:19], 0, v[96:97]
	v_not_b32_e32 v97, v171
	v_not_b32_e32 v115, v169
	v_ashrrev_i32_e32 v74, 31, v228
	v_ashrrev_i32_e32 v96, 31, v190
	;; [unrolled: 1-line block ×8, first 2 shown]
	v_mov_b32_e32 v68, v74
	v_mov_b32_e32 v63, v74
	;; [unrolled: 1-line block ×49, first 2 shown]
	s_waitcnt vmcnt(3)
	v_mov_b32_e32 v1, v6
	scratch_load_dwordx2 v[6:7], off, off offset:48 ; 8-byte Folded Reload
	v_mov_b32_e32 v207, v208
	scratch_store_dwordx2 off, v[0:1], off offset:224 ; 8-byte Folded Spill
	v_mov_b32_e32 v209, v210
	v_mov_b32_e32 v211, v212
	;; [unrolled: 1-line block ×37, first 2 shown]
	s_waitcnt vmcnt(1)
	v_mov_b32_e32 v1, v6
	scratch_load_dwordx2 v[6:7], off, off offset:24 ; 8-byte Folded Reload
	s_nop 0
	scratch_store_dwordx2 off, v[0:1], off offset:232 ; 8-byte Folded Spill
	s_waitcnt vmcnt(1)
	v_mov_b32_e32 v1, v6
	scratch_load_dwordx2 v[6:7], off, off offset:40 ; 8-byte Folded Reload
	s_nop 0
	scratch_store_dwordx2 off, v[0:1], off offset:240 ; 8-byte Folded Spill
	;; [unrolled: 5-line block ×8, first 2 shown]
	s_waitcnt vmcnt(1)
	v_mov_b32_e32 v1, v6
	scratch_load_dwordx2 v[6:7], off, off offset:96 ; 8-byte Folded Reload
	s_waitcnt vmcnt(0)
	v_mov_b32_e32 v33, v6
	scratch_load_dwordx2 v[6:7], off, off offset:104 ; 8-byte Folded Reload
	;; [unrolled: 3-line block ×4, first 2 shown]
	s_waitcnt vmcnt(0)
	v_mov_b32_e32 v64, v6
	v_mov_b32_e32 v61, v6
	scratch_load_dwordx2 v[6:7], off, off offset:380 ; 8-byte Folded Reload
	s_waitcnt vmcnt(0)
	v_mov_b32_e32 v66, v6
	v_mov_b32_e32 v35, v6
	scratch_load_dwordx2 v[6:7], off, off offset:388 ; 8-byte Folded Reload
	s_waitcnt vmcnt(0)
	v_mov_b32_e32 v78, v6
	scratch_store_dwordx2 off, v[0:1], off offset:296 ; 8-byte Folded Spill
	v_mov_b32_e32 v69, v6
	v_mov_b32_e32 v1, v22
	v_lshl_add_u64 v[6:7], v[20:21], 0, -1
	v_mov_b32_e32 v20, v30
	s_branch .LBB11_2
.LBB11_1:                               ;   in Loop: Header=BB11_2 Depth=1
	s_or_b64 exec, exec, s[94:95]
	s_add_i32 s33, s33, -1
	s_cmp_lg_u32 s33, 0
	s_waitcnt lgkmcnt(0)
	s_barrier
	s_cbranch_scc0 .LBB11_36
.LBB11_2:                               ; =>This Inner Loop Header: Depth=1
	s_and_saveexec_b64 s[94:95], s[92:93]
	s_cbranch_execz .LBB11_4
; %bb.3:                                ;   in Loop: Header=BB11_2 Depth=1
	ds_write_b32 v50, v21
.LBB11_4:                               ;   in Loop: Header=BB11_2 Depth=1
	s_or_b64 exec, exec, s[94:95]
	s_waitcnt lgkmcnt(0)
	s_barrier
	scratch_load_dwordx2 v[30:31], off, off offset:120 ; 8-byte Folded Reload
	scratch_load_dwordx2 v[54:55], off, off offset:208 ; 8-byte Folded Reload
	v_readlane_b32 s94, v252, 4
	v_readlane_b32 s95, v252, 5
	s_nop 1
	v_cndmask_b32_e64 v20, 0, 1, s[94:95]
	v_readlane_b32 s94, v252, 34
	v_readlane_b32 s95, v252, 35
	v_cmp_ne_u32_e32 vcc, 0, v20
	s_nop 0
	v_cndmask_b32_e64 v42, 0, 1, s[94:95]
	v_readlane_b32 s94, v252, 36
	v_readlane_b32 s95, v252, 37
	s_waitcnt vmcnt(1)
	v_xor_b32_e32 v20, vcc_hi, v31
	v_xor_b32_e32 v31, vcc_lo, v30
	v_cmp_ne_u32_e32 vcc, 0, v42
	v_and_b32_e32 v20, exec_hi, v20
	v_and_b32_e32 v31, exec_lo, v31
	s_waitcnt vmcnt(0)
	v_xor_b32_e32 v42, vcc_hi, v55
	scratch_load_dwordx2 v[54:55], off, off ; 8-byte Folded Reload
	v_and_b32_e32 v20, v20, v42
	v_cndmask_b32_e64 v42, 0, 1, s[94:95]
	v_readlane_b32 s94, v252, 38
	v_readlane_b32 s95, v252, 39
	s_waitcnt vmcnt(0)
	v_xor_b32_e32 v44, vcc_lo, v54
	scratch_load_dwordx2 v[54:55], off, off offset:216 ; 8-byte Folded Reload
	v_cmp_ne_u32_e32 vcc, 0, v42
	v_and_b32_e32 v31, v31, v44
	s_waitcnt vmcnt(0)
	v_xor_b32_e32 v42, vcc_hi, v55
	scratch_load_dwordx2 v[54:55], off, off offset:8 ; 8-byte Folded Reload
	v_and_b32_e32 v20, v20, v42
	v_cndmask_b32_e64 v42, 0, 1, s[94:95]
	v_readlane_b32 s94, v252, 40
	v_readlane_b32 s95, v252, 41
	s_waitcnt vmcnt(0)
	v_xor_b32_e32 v44, vcc_lo, v54
	scratch_load_dwordx2 v[54:55], off, off offset:224 ; 8-byte Folded Reload
	v_cmp_ne_u32_e32 vcc, 0, v42
	v_and_b32_e32 v31, v31, v44
	s_waitcnt vmcnt(0)
	v_xor_b32_e32 v42, vcc_hi, v55
	scratch_load_dwordx2 v[54:55], off, off offset:16 ; 8-byte Folded Reload
	;; [unrolled: 12-line block ×6, first 2 shown]
	v_and_b32_e32 v20, v20, v42
	s_waitcnt vmcnt(0)
	v_xor_b32_e32 v44, vcc_lo, v54
	v_and_b32_e32 v42, v31, v44
	v_cndmask_b32_e64 v31, 0, 1, s[94:95]
	v_cmp_ne_u32_e32 vcc, 0, v31
	scratch_load_dwordx2 v[30:31], off, off offset:232 ; 8-byte Folded Reload
	scratch_load_dwordx2 v[54:55], off, off offset:48 ; 8-byte Folded Reload
	s_waitcnt vmcnt(1)
	v_xor_b32_e32 v31, vcc_hi, v31
	s_waitcnt vmcnt(0)
	v_xor_b32_e32 v44, vcc_lo, v54
	v_and_b32_e32 v31, v20, v31
	v_and_b32_e32 v20, v42, v44
	v_mbcnt_lo_u32_b32 v42, v20, 0
	v_mbcnt_hi_u32_b32 v42, v31, v42
	v_cmp_eq_u32_e32 vcc, 0, v42
	s_and_saveexec_b64 s[94:95], vcc
	s_cbranch_execz .LBB11_6
; %bb.5:                                ;   in Loop: Header=BB11_2 Depth=1
	v_bcnt_u32_b32 v20, v20, 0
	v_bcnt_u32_b32 v20, v31, v20
	ds_add_u32 v81, v20
.LBB11_6:                               ;   in Loop: Header=BB11_2 Depth=1
	s_or_b64 exec, exec, s[94:95]
	scratch_load_dwordx2 v[30:31], off, off offset:128 ; 8-byte Folded Reload
	scratch_load_dwordx2 v[54:55], off, off offset:272 ; 8-byte Folded Reload
	v_readlane_b32 s94, v252, 6
	v_readlane_b32 s95, v252, 7
	s_nop 1
	v_cndmask_b32_e64 v20, 0, 1, s[94:95]
	v_readlane_b32 s94, v252, 50
	v_readlane_b32 s95, v252, 51
	v_cmp_ne_u32_e32 vcc, 0, v20
	s_nop 0
	v_cndmask_b32_e64 v42, 0, 1, s[94:95]
	v_readlane_b32 s94, v252, 52
	v_readlane_b32 s95, v252, 53
	s_waitcnt vmcnt(1)
	v_xor_b32_e32 v20, vcc_hi, v31
	v_xor_b32_e32 v31, vcc_lo, v30
	v_cmp_ne_u32_e32 vcc, 0, v42
	v_and_b32_e32 v20, exec_hi, v20
	v_and_b32_e32 v31, exec_lo, v31
	s_waitcnt vmcnt(0)
	v_xor_b32_e32 v42, vcc_hi, v55
	scratch_load_dwordx2 v[54:55], off, off offset:64 ; 8-byte Folded Reload
	v_and_b32_e32 v20, v20, v42
	v_cndmask_b32_e64 v42, 0, 1, s[94:95]
	v_readlane_b32 s94, v252, 54
	v_readlane_b32 s95, v252, 55
	v_mov_b32_e32 v30, v64
	s_waitcnt vmcnt(0)
	v_xor_b32_e32 v44, vcc_lo, v54
	scratch_load_dwordx2 v[54:55], off, off offset:280 ; 8-byte Folded Reload
	v_cmp_ne_u32_e32 vcc, 0, v42
	v_and_b32_e32 v31, v31, v44
	s_waitcnt vmcnt(0)
	v_xor_b32_e32 v42, vcc_hi, v55
	scratch_load_dwordx2 v[54:55], off, off offset:72 ; 8-byte Folded Reload
	v_and_b32_e32 v20, v20, v42
	v_cndmask_b32_e64 v42, 0, 1, s[94:95]
	v_readlane_b32 s94, v252, 56
	v_readlane_b32 s95, v252, 57
	s_waitcnt vmcnt(0)
	v_xor_b32_e32 v44, vcc_lo, v54
	scratch_load_dwordx2 v[54:55], off, off offset:288 ; 8-byte Folded Reload
	v_cmp_ne_u32_e32 vcc, 0, v42
	v_and_b32_e32 v31, v31, v44
	s_waitcnt vmcnt(0)
	v_xor_b32_e32 v42, vcc_hi, v55
	scratch_load_dwordx2 v[54:55], off, off offset:80 ; 8-byte Folded Reload
	v_and_b32_e32 v20, v20, v42
	v_cndmask_b32_e64 v42, 0, 1, s[94:95]
	v_readlane_b32 s94, v252, 58
	v_readlane_b32 s95, v252, 59
	;; [unrolled: 12-line block ×3, first 2 shown]
	s_waitcnt vmcnt(0)
	v_xor_b32_e32 v44, vcc_lo, v54
	scratch_load_dwordx2 v[54:55], off, off offset:96 ; 8-byte Folded Reload
	v_cmp_ne_u32_e32 vcc, 0, v42
	v_and_b32_e32 v31, v31, v44
	s_nop 0
	v_xor_b32_e32 v42, vcc_hi, v33
	v_and_b32_e32 v20, v20, v42
	v_cndmask_b32_e64 v42, 0, 1, s[94:95]
	v_readlane_b32 s94, v252, 62
	v_readlane_b32 s95, v252, 63
	s_waitcnt vmcnt(0)
	v_xor_b32_e32 v44, vcc_lo, v54
	scratch_load_dwordx2 v[54:55], off, off offset:104 ; 8-byte Folded Reload
	v_cmp_ne_u32_e32 vcc, 0, v42
	v_and_b32_e32 v31, v31, v44
	s_nop 0
	v_xor_b32_e32 v42, vcc_hi, v59
	v_and_b32_e32 v20, v20, v42
	v_cndmask_b32_e64 v42, 0, 1, s[94:95]
	v_readlane_b32 s94, v253, 0
	v_readlane_b32 s95, v253, 1
	s_waitcnt vmcnt(0)
	v_xor_b32_e32 v44, vcc_lo, v54
	scratch_load_dwordx2 v[54:55], off, off offset:112 ; 8-byte Folded Reload
	v_cmp_ne_u32_e32 vcc, 0, v42
	v_and_b32_e32 v31, v31, v44
	s_nop 0
	v_xor_b32_e32 v42, vcc_hi, v57
	v_and_b32_e32 v20, v20, v42
	s_waitcnt vmcnt(0)
	v_xor_b32_e32 v44, vcc_lo, v54
	v_and_b32_e32 v42, v31, v44
	v_cndmask_b32_e64 v31, 0, 1, s[94:95]
	v_cmp_ne_u32_e32 vcc, 0, v31
	s_nop 1
	v_xor_b32_e32 v31, vcc_hi, v61
	v_xor_b32_e32 v44, vcc_lo, v30
	v_and_b32_e32 v31, v20, v31
	v_and_b32_e32 v20, v42, v44
	v_mbcnt_lo_u32_b32 v42, v20, 0
	v_mbcnt_hi_u32_b32 v42, v31, v42
	v_cmp_eq_u32_e32 vcc, 0, v42
	s_and_saveexec_b64 s[94:95], vcc
	s_cbranch_execz .LBB11_8
; %bb.7:                                ;   in Loop: Header=BB11_2 Depth=1
	v_bcnt_u32_b32 v20, v20, 0
	v_bcnt_u32_b32 v20, v31, v20
	ds_add_u32 v48, v20
.LBB11_8:                               ;   in Loop: Header=BB11_2 Depth=1
	s_or_b64 exec, exec, s[94:95]
	scratch_load_dwordx2 v[30:31], off, off offset:136 ; 8-byte Folded Reload
	v_readlane_b32 s94, v252, 8
	v_readlane_b32 s95, v252, 9
	s_nop 1
	v_cndmask_b32_e64 v20, 0, 1, s[94:95]
	v_readlane_b32 s94, v253, 2
	v_readlane_b32 s95, v253, 3
	v_cmp_ne_u32_e32 vcc, 0, v20
	s_nop 0
	v_cndmask_b32_e64 v42, 0, 1, s[94:95]
	v_readlane_b32 s94, v253, 4
	v_readlane_b32 s95, v253, 5
	s_waitcnt vmcnt(0)
	v_xor_b32_e32 v20, vcc_hi, v31
	v_xor_b32_e32 v31, vcc_lo, v30
	v_cmp_ne_u32_e32 vcc, 0, v42
	v_and_b32_e32 v20, exec_hi, v20
	v_mov_b32_e32 v30, v66
	v_xor_b32_e32 v42, vcc_hi, v35
	v_and_b32_e32 v20, v20, v42
	v_cndmask_b32_e64 v42, 0, 1, s[94:95]
	v_xor_b32_e32 v44, vcc_lo, v30
	v_cmp_ne_u32_e32 vcc, 0, v42
	v_readlane_b32 s94, v253, 6
	v_readlane_b32 s95, v253, 7
	v_xor_b32_e32 v42, vcc_hi, v63
	v_and_b32_e32 v31, exec_lo, v31
	v_mov_b32_e32 v30, v68
	v_and_b32_e32 v20, v20, v42
	v_cndmask_b32_e64 v42, 0, 1, s[94:95]
	v_and_b32_e32 v31, v31, v44
	v_xor_b32_e32 v44, vcc_lo, v30
	v_cmp_ne_u32_e32 vcc, 0, v42
	v_readlane_b32 s94, v253, 8
	v_readlane_b32 s95, v253, 9
	v_xor_b32_e32 v42, vcc_hi, v65
	v_mov_b32_e32 v30, v74
	v_and_b32_e32 v20, v20, v42
	v_cndmask_b32_e64 v42, 0, 1, s[94:95]
	v_and_b32_e32 v31, v31, v44
	v_xor_b32_e32 v44, vcc_lo, v30
	v_cmp_ne_u32_e32 vcc, 0, v42
	v_readlane_b32 s94, v253, 10
	v_readlane_b32 s95, v253, 11
	v_xor_b32_e32 v42, vcc_hi, v67
	;; [unrolled: 9-line block ×4, first 2 shown]
	v_mov_b32_e32 v30, v32
	v_and_b32_e32 v20, v20, v42
	v_cndmask_b32_e64 v42, 0, 1, s[94:95]
	v_and_b32_e32 v31, v31, v44
	v_xor_b32_e32 v44, vcc_lo, v30
	v_cmp_ne_u32_e32 vcc, 0, v42
	v_mov_b32_e32 v30, v56
	v_readlane_b32 s94, v253, 16
	v_and_b32_e32 v31, v31, v44
	v_xor_b32_e32 v42, vcc_hi, v73
	v_xor_b32_e32 v44, vcc_lo, v30
	v_readlane_b32 s95, v253, 17
	v_and_b32_e32 v20, v20, v42
	v_and_b32_e32 v42, v31, v44
	v_cndmask_b32_e64 v31, 0, 1, s[94:95]
	v_cmp_ne_u32_e32 vcc, 0, v31
	v_mov_b32_e32 v30, v60
	s_nop 0
	v_xor_b32_e32 v31, vcc_hi, v75
	v_xor_b32_e32 v44, vcc_lo, v30
	v_and_b32_e32 v31, v20, v31
	v_and_b32_e32 v20, v42, v44
	v_mbcnt_lo_u32_b32 v42, v20, 0
	v_mbcnt_hi_u32_b32 v42, v31, v42
	v_cmp_eq_u32_e32 vcc, 0, v42
	s_and_saveexec_b64 s[94:95], vcc
	s_cbranch_execz .LBB11_10
; %bb.9:                                ;   in Loop: Header=BB11_2 Depth=1
	v_bcnt_u32_b32 v20, v20, 0
	v_bcnt_u32_b32 v20, v31, v20
	ds_add_u32 v40, v20
.LBB11_10:                              ;   in Loop: Header=BB11_2 Depth=1
	s_or_b64 exec, exec, s[94:95]
	scratch_load_dwordx2 v[30:31], off, off offset:144 ; 8-byte Folded Reload
	v_readlane_b32 s94, v252, 10
	v_readlane_b32 s95, v252, 11
	s_nop 1
	v_cndmask_b32_e64 v20, 0, 1, s[94:95]
	v_readlane_b32 s94, v253, 18
	v_readlane_b32 s95, v253, 19
	v_cmp_ne_u32_e32 vcc, 0, v20
	s_nop 0
	v_cndmask_b32_e64 v42, 0, 1, s[94:95]
	v_readlane_b32 s94, v253, 20
	v_readlane_b32 s95, v253, 21
	s_waitcnt vmcnt(0)
	v_xor_b32_e32 v20, vcc_hi, v31
	v_xor_b32_e32 v31, vcc_lo, v30
	v_cmp_ne_u32_e32 vcc, 0, v42
	v_and_b32_e32 v20, exec_hi, v20
	v_mov_b32_e32 v30, v58
	v_xor_b32_e32 v42, vcc_hi, v77
	v_and_b32_e32 v20, v20, v42
	v_cndmask_b32_e64 v42, 0, 1, s[94:95]
	v_xor_b32_e32 v44, vcc_lo, v30
	v_cmp_ne_u32_e32 vcc, 0, v42
	v_readlane_b32 s94, v253, 22
	v_readlane_b32 s95, v253, 23
	v_xor_b32_e32 v42, vcc_hi, v79
	v_and_b32_e32 v31, exec_lo, v31
	v_mov_b32_e32 v30, v62
	v_and_b32_e32 v20, v20, v42
	v_cndmask_b32_e64 v42, 0, 1, s[94:95]
	v_and_b32_e32 v31, v31, v44
	v_xor_b32_e32 v44, vcc_lo, v30
	v_cmp_ne_u32_e32 vcc, 0, v42
	v_readlane_b32 s94, v253, 24
	v_readlane_b32 s95, v253, 25
	v_xor_b32_e32 v42, vcc_hi, v85
	v_mov_b32_e32 v30, v34
	v_and_b32_e32 v20, v20, v42
	v_cndmask_b32_e64 v42, 0, 1, s[94:95]
	v_and_b32_e32 v31, v31, v44
	v_xor_b32_e32 v44, vcc_lo, v30
	v_cmp_ne_u32_e32 vcc, 0, v42
	v_readlane_b32 s94, v253, 26
	v_readlane_b32 s95, v253, 27
	v_xor_b32_e32 v42, vcc_hi, v87
	v_and_b32_e32 v20, v20, v42
	v_cndmask_b32_e64 v42, 0, 1, s[94:95]
	v_and_b32_e32 v31, v31, v44
	v_xor_b32_e32 v44, vcc_lo, v90
	v_cmp_ne_u32_e32 vcc, 0, v42
	v_readlane_b32 s94, v253, 28
	v_readlane_b32 s95, v253, 29
	v_xor_b32_e32 v42, vcc_hi, v89
	;; [unrolled: 8-line block ×3, first 2 shown]
	v_and_b32_e32 v20, v20, v42
	v_cndmask_b32_e64 v42, 0, 1, s[94:95]
	v_and_b32_e32 v31, v31, v44
	v_xor_b32_e32 v44, vcc_lo, v94
	v_cmp_ne_u32_e32 vcc, 0, v42
	v_readlane_b32 s94, v253, 32
	v_and_b32_e32 v31, v31, v44
	v_xor_b32_e32 v42, vcc_hi, v93
	v_xor_b32_e32 v44, vcc_lo, v96
	v_readlane_b32 s95, v253, 33
	v_and_b32_e32 v20, v20, v42
	v_and_b32_e32 v42, v31, v44
	v_cndmask_b32_e64 v31, 0, 1, s[94:95]
	v_cmp_ne_u32_e32 vcc, 0, v31
	s_nop 1
	v_xor_b32_e32 v31, vcc_hi, v95
	v_xor_b32_e32 v44, vcc_lo, v98
	v_and_b32_e32 v31, v20, v31
	v_and_b32_e32 v20, v42, v44
	v_mbcnt_lo_u32_b32 v42, v20, 0
	v_mbcnt_hi_u32_b32 v42, v31, v42
	v_cmp_eq_u32_e32 vcc, 0, v42
	s_and_saveexec_b64 s[94:95], vcc
	s_cbranch_execz .LBB11_12
; %bb.11:                               ;   in Loop: Header=BB11_2 Depth=1
	v_bcnt_u32_b32 v20, v20, 0
	v_bcnt_u32_b32 v20, v31, v20
	ds_add_u32 v83, v20
.LBB11_12:                              ;   in Loop: Header=BB11_2 Depth=1
	s_or_b64 exec, exec, s[94:95]
	scratch_load_dwordx2 v[30:31], off, off offset:152 ; 8-byte Folded Reload
	v_readlane_b32 s94, v252, 12
	v_readlane_b32 s95, v252, 13
	s_nop 1
	v_cndmask_b32_e64 v20, 0, 1, s[94:95]
	v_readlane_b32 s94, v253, 34
	v_readlane_b32 s95, v253, 35
	v_cmp_ne_u32_e32 vcc, 0, v20
	s_nop 0
	v_cndmask_b32_e64 v42, 0, 1, s[94:95]
	v_readlane_b32 s94, v253, 36
	v_readlane_b32 s95, v253, 37
	s_waitcnt vmcnt(0)
	v_xor_b32_e32 v20, vcc_hi, v31
	v_xor_b32_e32 v31, vcc_lo, v30
	v_cmp_ne_u32_e32 vcc, 0, v42
	v_and_b32_e32 v20, exec_hi, v20
	v_and_b32_e32 v31, exec_lo, v31
	v_xor_b32_e32 v42, vcc_hi, v97
	v_and_b32_e32 v20, v20, v42
	v_cndmask_b32_e64 v42, 0, 1, s[94:95]
	v_xor_b32_e32 v44, vcc_lo, v100
	v_cmp_ne_u32_e32 vcc, 0, v42
	v_readlane_b32 s94, v253, 38
	v_readlane_b32 s95, v253, 39
	v_xor_b32_e32 v42, vcc_hi, v99
	v_and_b32_e32 v20, v20, v42
	v_cndmask_b32_e64 v42, 0, 1, s[94:95]
	v_and_b32_e32 v31, v31, v44
	v_xor_b32_e32 v44, vcc_lo, v102
	v_cmp_ne_u32_e32 vcc, 0, v42
	v_readlane_b32 s94, v253, 40
	v_readlane_b32 s95, v253, 41
	v_xor_b32_e32 v42, vcc_hi, v101
	v_and_b32_e32 v20, v20, v42
	v_cndmask_b32_e64 v42, 0, 1, s[94:95]
	v_and_b32_e32 v31, v31, v44
	;; [unrolled: 8-line block ×5, first 2 shown]
	v_xor_b32_e32 v44, vcc_lo, v110
	v_cmp_ne_u32_e32 vcc, 0, v42
	v_readlane_b32 s94, v253, 48
	v_and_b32_e32 v31, v31, v44
	v_xor_b32_e32 v42, vcc_hi, v109
	v_xor_b32_e32 v44, vcc_lo, v112
	v_readlane_b32 s95, v253, 49
	v_and_b32_e32 v20, v20, v42
	v_and_b32_e32 v42, v31, v44
	v_cndmask_b32_e64 v31, 0, 1, s[94:95]
	v_cmp_ne_u32_e32 vcc, 0, v31
	s_nop 1
	v_xor_b32_e32 v31, vcc_hi, v111
	v_xor_b32_e32 v44, vcc_lo, v114
	v_and_b32_e32 v31, v20, v31
	v_and_b32_e32 v20, v42, v44
	v_mbcnt_lo_u32_b32 v42, v20, 0
	v_mbcnt_hi_u32_b32 v42, v31, v42
	v_cmp_eq_u32_e32 vcc, 0, v42
	s_and_saveexec_b64 s[94:95], vcc
	s_cbranch_execz .LBB11_14
; %bb.13:                               ;   in Loop: Header=BB11_2 Depth=1
	v_bcnt_u32_b32 v20, v20, 0
	v_bcnt_u32_b32 v20, v31, v20
	scratch_load_dword v31, off, off offset:304 ; 4-byte Folded Reload
	s_waitcnt vmcnt(0)
	ds_add_u32 v31, v20
.LBB11_14:                              ;   in Loop: Header=BB11_2 Depth=1
	s_or_b64 exec, exec, s[94:95]
	scratch_load_dwordx2 v[30:31], off, off offset:160 ; 8-byte Folded Reload
	v_readlane_b32 s94, v252, 14
	v_readlane_b32 s95, v252, 15
	s_nop 1
	v_cndmask_b32_e64 v20, 0, 1, s[94:95]
	v_readlane_b32 s94, v253, 50
	v_readlane_b32 s95, v253, 51
	v_cmp_ne_u32_e32 vcc, 0, v20
	s_nop 0
	v_cndmask_b32_e64 v42, 0, 1, s[94:95]
	v_readlane_b32 s94, v253, 52
	v_readlane_b32 s95, v253, 53
	s_waitcnt vmcnt(0)
	v_xor_b32_e32 v20, vcc_hi, v31
	v_xor_b32_e32 v31, vcc_lo, v30
	v_cmp_ne_u32_e32 vcc, 0, v42
	v_and_b32_e32 v20, exec_hi, v20
	v_and_b32_e32 v31, exec_lo, v31
	v_xor_b32_e32 v42, vcc_hi, v113
	v_and_b32_e32 v20, v20, v42
	v_cndmask_b32_e64 v42, 0, 1, s[94:95]
	v_xor_b32_e32 v44, vcc_lo, v116
	v_cmp_ne_u32_e32 vcc, 0, v42
	v_readlane_b32 s94, v253, 54
	v_readlane_b32 s95, v253, 55
	v_xor_b32_e32 v42, vcc_hi, v115
	v_and_b32_e32 v20, v20, v42
	v_cndmask_b32_e64 v42, 0, 1, s[94:95]
	v_and_b32_e32 v31, v31, v44
	v_xor_b32_e32 v44, vcc_lo, v118
	v_cmp_ne_u32_e32 vcc, 0, v42
	v_readlane_b32 s94, v253, 56
	v_readlane_b32 s95, v253, 57
	v_xor_b32_e32 v42, vcc_hi, v117
	v_and_b32_e32 v20, v20, v42
	v_cndmask_b32_e64 v42, 0, 1, s[94:95]
	v_and_b32_e32 v31, v31, v44
	;; [unrolled: 8-line block ×5, first 2 shown]
	v_xor_b32_e32 v44, vcc_lo, v126
	v_cmp_ne_u32_e32 vcc, 0, v42
	v_readlane_b32 s94, v254, 0
	v_and_b32_e32 v31, v31, v44
	v_xor_b32_e32 v42, vcc_hi, v125
	v_xor_b32_e32 v44, vcc_lo, v128
	v_readlane_b32 s95, v254, 1
	v_and_b32_e32 v20, v20, v42
	v_and_b32_e32 v42, v31, v44
	v_cndmask_b32_e64 v31, 0, 1, s[94:95]
	v_cmp_ne_u32_e32 vcc, 0, v31
	s_nop 1
	v_xor_b32_e32 v31, vcc_hi, v127
	v_xor_b32_e32 v44, vcc_lo, v130
	v_and_b32_e32 v31, v20, v31
	v_and_b32_e32 v20, v42, v44
	v_mbcnt_lo_u32_b32 v42, v20, 0
	v_mbcnt_hi_u32_b32 v42, v31, v42
	v_cmp_eq_u32_e32 vcc, 0, v42
	s_and_saveexec_b64 s[94:95], vcc
	s_cbranch_execz .LBB11_16
; %bb.15:                               ;   in Loop: Header=BB11_2 Depth=1
	v_bcnt_u32_b32 v20, v20, 0
	v_bcnt_u32_b32 v20, v31, v20
	scratch_load_dword v31, off, off offset:308 ; 4-byte Folded Reload
	s_waitcnt vmcnt(0)
	ds_add_u32 v31, v20
.LBB11_16:                              ;   in Loop: Header=BB11_2 Depth=1
	s_or_b64 exec, exec, s[94:95]
	scratch_load_dwordx2 v[30:31], off, off offset:168 ; 8-byte Folded Reload
	v_readlane_b32 s94, v252, 16
	v_readlane_b32 s95, v252, 17
	s_nop 1
	v_cndmask_b32_e64 v20, 0, 1, s[94:95]
	v_readlane_b32 s94, v254, 2
	v_readlane_b32 s95, v254, 3
	v_cmp_ne_u32_e32 vcc, 0, v20
	s_nop 0
	v_cndmask_b32_e64 v42, 0, 1, s[94:95]
	v_readlane_b32 s94, v254, 4
	v_readlane_b32 s95, v254, 5
	s_waitcnt vmcnt(0)
	v_xor_b32_e32 v20, vcc_hi, v31
	v_xor_b32_e32 v31, vcc_lo, v30
	v_cmp_ne_u32_e32 vcc, 0, v42
	v_and_b32_e32 v20, exec_hi, v20
	v_and_b32_e32 v31, exec_lo, v31
	v_xor_b32_e32 v42, vcc_hi, v129
	v_and_b32_e32 v20, v20, v42
	v_cndmask_b32_e64 v42, 0, 1, s[94:95]
	v_xor_b32_e32 v44, vcc_lo, v132
	v_cmp_ne_u32_e32 vcc, 0, v42
	v_readlane_b32 s94, v254, 6
	v_readlane_b32 s95, v254, 7
	v_xor_b32_e32 v42, vcc_hi, v131
	v_and_b32_e32 v20, v20, v42
	v_cndmask_b32_e64 v42, 0, 1, s[94:95]
	v_and_b32_e32 v31, v31, v44
	v_xor_b32_e32 v44, vcc_lo, v134
	v_cmp_ne_u32_e32 vcc, 0, v42
	v_readlane_b32 s94, v254, 8
	v_readlane_b32 s95, v254, 9
	v_xor_b32_e32 v42, vcc_hi, v133
	v_and_b32_e32 v20, v20, v42
	v_cndmask_b32_e64 v42, 0, 1, s[94:95]
	v_and_b32_e32 v31, v31, v44
	;; [unrolled: 8-line block ×5, first 2 shown]
	v_xor_b32_e32 v44, vcc_lo, v142
	v_cmp_ne_u32_e32 vcc, 0, v42
	v_readlane_b32 s94, v254, 16
	v_and_b32_e32 v31, v31, v44
	v_xor_b32_e32 v42, vcc_hi, v141
	v_xor_b32_e32 v44, vcc_lo, v144
	v_readlane_b32 s95, v254, 17
	v_and_b32_e32 v20, v20, v42
	v_and_b32_e32 v42, v31, v44
	v_cndmask_b32_e64 v31, 0, 1, s[94:95]
	v_cmp_ne_u32_e32 vcc, 0, v31
	s_nop 1
	v_xor_b32_e32 v31, vcc_hi, v143
	v_xor_b32_e32 v44, vcc_lo, v146
	v_and_b32_e32 v31, v20, v31
	v_and_b32_e32 v20, v42, v44
	v_mbcnt_lo_u32_b32 v42, v20, 0
	v_mbcnt_hi_u32_b32 v42, v31, v42
	v_cmp_eq_u32_e32 vcc, 0, v42
	s_and_saveexec_b64 s[94:95], vcc
	s_cbranch_execz .LBB11_18
; %bb.17:                               ;   in Loop: Header=BB11_2 Depth=1
	v_bcnt_u32_b32 v20, v20, 0
	v_bcnt_u32_b32 v20, v31, v20
	scratch_load_dword v31, off, off offset:312 ; 4-byte Folded Reload
	s_waitcnt vmcnt(0)
	ds_add_u32 v31, v20
.LBB11_18:                              ;   in Loop: Header=BB11_2 Depth=1
	s_or_b64 exec, exec, s[94:95]
	scratch_load_dwordx2 v[30:31], off, off offset:176 ; 8-byte Folded Reload
	v_readlane_b32 s94, v252, 18
	v_readlane_b32 s95, v252, 19
	s_nop 1
	v_cndmask_b32_e64 v20, 0, 1, s[94:95]
	v_readlane_b32 s94, v254, 18
	v_readlane_b32 s95, v254, 19
	v_cmp_ne_u32_e32 vcc, 0, v20
	s_nop 0
	v_cndmask_b32_e64 v42, 0, 1, s[94:95]
	v_readlane_b32 s94, v254, 20
	v_readlane_b32 s95, v254, 21
	s_waitcnt vmcnt(0)
	v_xor_b32_e32 v20, vcc_hi, v31
	v_xor_b32_e32 v31, vcc_lo, v30
	v_cmp_ne_u32_e32 vcc, 0, v42
	v_and_b32_e32 v20, exec_hi, v20
	v_and_b32_e32 v31, exec_lo, v31
	v_xor_b32_e32 v42, vcc_hi, v145
	v_and_b32_e32 v20, v20, v42
	v_cndmask_b32_e64 v42, 0, 1, s[94:95]
	v_xor_b32_e32 v44, vcc_lo, v148
	v_cmp_ne_u32_e32 vcc, 0, v42
	v_readlane_b32 s94, v254, 22
	v_readlane_b32 s95, v254, 23
	v_xor_b32_e32 v42, vcc_hi, v147
	v_and_b32_e32 v20, v20, v42
	v_cndmask_b32_e64 v42, 0, 1, s[94:95]
	v_and_b32_e32 v31, v31, v44
	v_xor_b32_e32 v44, vcc_lo, v150
	v_cmp_ne_u32_e32 vcc, 0, v42
	v_readlane_b32 s94, v254, 24
	v_readlane_b32 s95, v254, 25
	v_xor_b32_e32 v42, vcc_hi, v149
	v_and_b32_e32 v20, v20, v42
	v_cndmask_b32_e64 v42, 0, 1, s[94:95]
	v_and_b32_e32 v31, v31, v44
	;; [unrolled: 8-line block ×5, first 2 shown]
	v_xor_b32_e32 v44, vcc_lo, v158
	v_cmp_ne_u32_e32 vcc, 0, v42
	v_readlane_b32 s94, v254, 32
	v_and_b32_e32 v31, v31, v44
	v_xor_b32_e32 v42, vcc_hi, v157
	v_xor_b32_e32 v44, vcc_lo, v160
	v_readlane_b32 s95, v254, 33
	v_and_b32_e32 v20, v20, v42
	v_and_b32_e32 v42, v31, v44
	v_cndmask_b32_e64 v31, 0, 1, s[94:95]
	v_cmp_ne_u32_e32 vcc, 0, v31
	s_nop 1
	v_xor_b32_e32 v31, vcc_hi, v159
	v_xor_b32_e32 v44, vcc_lo, v162
	v_and_b32_e32 v31, v20, v31
	v_and_b32_e32 v20, v42, v44
	v_mbcnt_lo_u32_b32 v42, v20, 0
	v_mbcnt_hi_u32_b32 v42, v31, v42
	v_cmp_eq_u32_e32 vcc, 0, v42
	s_and_saveexec_b64 s[94:95], vcc
	s_cbranch_execz .LBB11_20
; %bb.19:                               ;   in Loop: Header=BB11_2 Depth=1
	v_bcnt_u32_b32 v20, v20, 0
	v_bcnt_u32_b32 v20, v31, v20
	scratch_load_dword v31, off, off offset:316 ; 4-byte Folded Reload
	s_waitcnt vmcnt(0)
	ds_add_u32 v31, v20
.LBB11_20:                              ;   in Loop: Header=BB11_2 Depth=1
	s_or_b64 exec, exec, s[94:95]
	scratch_load_dwordx2 v[30:31], off, off offset:184 ; 8-byte Folded Reload
	v_readlane_b32 s94, v252, 20
	v_readlane_b32 s95, v252, 21
	s_nop 1
	v_cndmask_b32_e64 v20, 0, 1, s[94:95]
	v_readlane_b32 s94, v254, 34
	v_readlane_b32 s95, v254, 35
	v_cmp_ne_u32_e32 vcc, 0, v20
	s_nop 0
	v_cndmask_b32_e64 v42, 0, 1, s[94:95]
	v_readlane_b32 s94, v254, 36
	v_readlane_b32 s95, v254, 37
	s_waitcnt vmcnt(0)
	v_xor_b32_e32 v20, vcc_hi, v31
	v_xor_b32_e32 v31, vcc_lo, v30
	v_cmp_ne_u32_e32 vcc, 0, v42
	v_and_b32_e32 v20, exec_hi, v20
	v_and_b32_e32 v31, exec_lo, v31
	v_xor_b32_e32 v42, vcc_hi, v161
	v_and_b32_e32 v20, v20, v42
	v_cndmask_b32_e64 v42, 0, 1, s[94:95]
	v_xor_b32_e32 v44, vcc_lo, v164
	v_cmp_ne_u32_e32 vcc, 0, v42
	v_readlane_b32 s94, v254, 38
	v_readlane_b32 s95, v254, 39
	v_xor_b32_e32 v42, vcc_hi, v163
	v_and_b32_e32 v20, v20, v42
	v_cndmask_b32_e64 v42, 0, 1, s[94:95]
	v_and_b32_e32 v31, v31, v44
	v_xor_b32_e32 v44, vcc_lo, v166
	v_cmp_ne_u32_e32 vcc, 0, v42
	v_readlane_b32 s94, v254, 40
	v_readlane_b32 s95, v254, 41
	v_xor_b32_e32 v42, vcc_hi, v165
	v_and_b32_e32 v20, v20, v42
	v_cndmask_b32_e64 v42, 0, 1, s[94:95]
	v_and_b32_e32 v31, v31, v44
	;; [unrolled: 8-line block ×5, first 2 shown]
	v_xor_b32_e32 v44, vcc_lo, v174
	v_cmp_ne_u32_e32 vcc, 0, v42
	v_readlane_b32 s94, v254, 48
	v_and_b32_e32 v31, v31, v44
	v_xor_b32_e32 v42, vcc_hi, v173
	v_xor_b32_e32 v44, vcc_lo, v176
	v_readlane_b32 s95, v254, 49
	v_and_b32_e32 v20, v20, v42
	v_and_b32_e32 v42, v31, v44
	v_cndmask_b32_e64 v31, 0, 1, s[94:95]
	v_cmp_ne_u32_e32 vcc, 0, v31
	s_nop 1
	v_xor_b32_e32 v31, vcc_hi, v175
	v_xor_b32_e32 v44, vcc_lo, v178
	v_and_b32_e32 v31, v20, v31
	v_and_b32_e32 v20, v42, v44
	v_mbcnt_lo_u32_b32 v42, v20, 0
	v_mbcnt_hi_u32_b32 v42, v31, v42
	v_cmp_eq_u32_e32 vcc, 0, v42
	s_and_saveexec_b64 s[94:95], vcc
	s_cbranch_execz .LBB11_22
; %bb.21:                               ;   in Loop: Header=BB11_2 Depth=1
	scratch_load_dword v30, off, off offset:320 ; 4-byte Folded Reload
	v_bcnt_u32_b32 v20, v20, 0
	v_bcnt_u32_b32 v20, v31, v20
	s_waitcnt vmcnt(0)
	ds_add_u32 v30, v20
.LBB11_22:                              ;   in Loop: Header=BB11_2 Depth=1
	s_or_b64 exec, exec, s[94:95]
	scratch_load_dwordx2 v[30:31], off, off offset:192 ; 8-byte Folded Reload
	v_readlane_b32 s94, v252, 22
	v_readlane_b32 s95, v252, 23
	s_nop 1
	v_cndmask_b32_e64 v20, 0, 1, s[94:95]
	v_readlane_b32 s94, v254, 50
	v_readlane_b32 s95, v254, 51
	v_cmp_ne_u32_e32 vcc, 0, v20
	s_nop 0
	v_cndmask_b32_e64 v42, 0, 1, s[94:95]
	v_readlane_b32 s94, v254, 52
	v_readlane_b32 s95, v254, 53
	s_waitcnt vmcnt(0)
	v_xor_b32_e32 v20, vcc_hi, v31
	v_xor_b32_e32 v31, vcc_lo, v30
	v_cmp_ne_u32_e32 vcc, 0, v42
	v_and_b32_e32 v20, exec_hi, v20
	v_and_b32_e32 v31, exec_lo, v31
	v_xor_b32_e32 v42, vcc_hi, v177
	v_and_b32_e32 v20, v20, v42
	v_cndmask_b32_e64 v42, 0, 1, s[94:95]
	v_xor_b32_e32 v44, vcc_lo, v0
	v_cmp_ne_u32_e32 vcc, 0, v42
	v_readlane_b32 s94, v254, 54
	v_readlane_b32 s95, v254, 55
	v_xor_b32_e32 v42, vcc_hi, v179
	v_and_b32_e32 v20, v20, v42
	v_cndmask_b32_e64 v42, 0, 1, s[94:95]
	v_and_b32_e32 v31, v31, v44
	v_xor_b32_e32 v44, vcc_lo, v180
	v_cmp_ne_u32_e32 vcc, 0, v42
	v_readlane_b32 s94, v254, 56
	v_readlane_b32 s95, v254, 57
	v_xor_b32_e32 v42, vcc_hi, v181
	v_and_b32_e32 v20, v20, v42
	v_cndmask_b32_e64 v42, 0, 1, s[94:95]
	v_and_b32_e32 v31, v31, v44
	;; [unrolled: 8-line block ×5, first 2 shown]
	v_xor_b32_e32 v44, vcc_lo, v188
	v_cmp_ne_u32_e32 vcc, 0, v42
	v_readlane_b32 s94, v255, 0
	v_and_b32_e32 v31, v31, v44
	v_xor_b32_e32 v42, vcc_hi, v189
	v_xor_b32_e32 v44, vcc_lo, v190
	v_readlane_b32 s95, v255, 1
	v_and_b32_e32 v20, v20, v42
	v_and_b32_e32 v42, v31, v44
	v_cndmask_b32_e64 v31, 0, 1, s[94:95]
	v_cmp_ne_u32_e32 vcc, 0, v31
	s_nop 1
	v_xor_b32_e32 v31, vcc_hi, v191
	v_xor_b32_e32 v44, vcc_lo, v192
	v_and_b32_e32 v31, v20, v31
	v_and_b32_e32 v20, v42, v44
	v_mbcnt_lo_u32_b32 v42, v20, 0
	v_mbcnt_hi_u32_b32 v42, v31, v42
	v_cmp_eq_u32_e32 vcc, 0, v42
	s_and_saveexec_b64 s[94:95], vcc
	s_cbranch_execz .LBB11_24
; %bb.23:                               ;   in Loop: Header=BB11_2 Depth=1
	scratch_load_dword v30, off, off offset:324 ; 4-byte Folded Reload
	v_bcnt_u32_b32 v20, v20, 0
	v_bcnt_u32_b32 v20, v31, v20
	s_waitcnt vmcnt(0)
	ds_add_u32 v30, v20
.LBB11_24:                              ;   in Loop: Header=BB11_2 Depth=1
	s_or_b64 exec, exec, s[94:95]
	scratch_load_dwordx2 v[30:31], off, off offset:200 ; 8-byte Folded Reload
	v_readlane_b32 s94, v252, 24
	v_readlane_b32 s95, v252, 25
	s_nop 1
	v_cndmask_b32_e64 v20, 0, 1, s[94:95]
	v_readlane_b32 s94, v255, 2
	v_readlane_b32 s95, v255, 3
	v_cmp_ne_u32_e32 vcc, 0, v20
	s_nop 0
	v_cndmask_b32_e64 v42, 0, 1, s[94:95]
	v_readlane_b32 s94, v255, 4
	v_readlane_b32 s95, v255, 5
	s_waitcnt vmcnt(0)
	v_xor_b32_e32 v20, vcc_hi, v31
	v_xor_b32_e32 v31, vcc_lo, v30
	v_cmp_ne_u32_e32 vcc, 0, v42
	v_and_b32_e32 v20, exec_hi, v20
	v_and_b32_e32 v31, exec_lo, v31
	v_xor_b32_e32 v42, vcc_hi, v193
	v_and_b32_e32 v20, v20, v42
	v_cndmask_b32_e64 v42, 0, 1, s[94:95]
	v_xor_b32_e32 v44, vcc_lo, v194
	v_cmp_ne_u32_e32 vcc, 0, v42
	v_and_b32_e32 v31, v31, v44
	s_nop 0
	v_xor_b32_e32 v42, vcc_hi, v195
	v_and_b32_e32 v20, v20, v42
	v_cndmask_b32_e64 v42, 0, 1, s[96:97]
	v_xor_b32_e32 v44, vcc_lo, v196
	v_cmp_ne_u32_e32 vcc, 0, v42
	v_and_b32_e32 v31, v31, v44
	s_nop 0
	;; [unrolled: 7-line block ×6, first 2 shown]
	v_xor_b32_e32 v42, vcc_hi, v205
	v_xor_b32_e32 v44, vcc_lo, v206
	v_and_b32_e32 v20, v20, v42
	v_and_b32_e32 v42, v31, v44
	v_cndmask_b32_e64 v31, 0, 1, s[6:7]
	v_cmp_ne_u32_e32 vcc, 0, v31
	s_nop 1
	v_xor_b32_e32 v31, vcc_hi, v207
	v_xor_b32_e32 v44, vcc_lo, v208
	v_and_b32_e32 v31, v20, v31
	v_and_b32_e32 v20, v42, v44
	v_mbcnt_lo_u32_b32 v42, v20, 0
	v_mbcnt_hi_u32_b32 v42, v31, v42
	v_cmp_eq_u32_e32 vcc, 0, v42
	s_and_saveexec_b64 s[94:95], vcc
	s_cbranch_execz .LBB11_26
; %bb.25:                               ;   in Loop: Header=BB11_2 Depth=1
	scratch_load_dword v30, off, off offset:328 ; 4-byte Folded Reload
	v_bcnt_u32_b32 v20, v20, 0
	v_bcnt_u32_b32 v20, v31, v20
	s_waitcnt vmcnt(0)
	ds_add_u32 v30, v20
.LBB11_26:                              ;   in Loop: Header=BB11_2 Depth=1
	s_or_b64 exec, exec, s[94:95]
	v_readlane_b32 s94, v252, 26
	v_readlane_b32 s95, v252, 27
	v_cndmask_b32_e64 v42, 0, 1, s[8:9]
	s_nop 0
	v_cndmask_b32_e64 v20, 0, 1, s[94:95]
	v_cmp_ne_u32_e32 vcc, 0, v20
	s_nop 1
	v_xor_b32_e32 v20, vcc_hi, v15
	v_xor_b32_e32 v31, vcc_lo, v14
	v_cmp_ne_u32_e32 vcc, 0, v42
	v_and_b32_e32 v20, exec_hi, v20
	v_and_b32_e32 v31, exec_lo, v31
	v_xor_b32_e32 v42, vcc_hi, v209
	v_and_b32_e32 v20, v20, v42
	v_cndmask_b32_e64 v42, 0, 1, s[10:11]
	v_xor_b32_e32 v44, vcc_lo, v210
	v_cmp_ne_u32_e32 vcc, 0, v42
	v_and_b32_e32 v31, v31, v44
	s_nop 0
	v_xor_b32_e32 v42, vcc_hi, v211
	v_and_b32_e32 v20, v20, v42
	v_cndmask_b32_e64 v42, 0, 1, s[12:13]
	v_xor_b32_e32 v44, vcc_lo, v212
	v_cmp_ne_u32_e32 vcc, 0, v42
	v_and_b32_e32 v31, v31, v44
	s_nop 0
	;; [unrolled: 7-line block ×6, first 2 shown]
	v_xor_b32_e32 v42, vcc_hi, v221
	v_xor_b32_e32 v44, vcc_lo, v222
	v_and_b32_e32 v20, v20, v42
	v_and_b32_e32 v42, v31, v44
	v_cndmask_b32_e64 v31, 0, 1, s[22:23]
	v_cmp_ne_u32_e32 vcc, 0, v31
	s_nop 1
	v_xor_b32_e32 v31, vcc_hi, v223
	v_xor_b32_e32 v44, vcc_lo, v224
	v_and_b32_e32 v31, v20, v31
	v_and_b32_e32 v20, v42, v44
	v_mbcnt_lo_u32_b32 v42, v20, 0
	v_mbcnt_hi_u32_b32 v42, v31, v42
	v_cmp_eq_u32_e32 vcc, 0, v42
	s_and_saveexec_b64 s[94:95], vcc
	s_cbranch_execz .LBB11_28
; %bb.27:                               ;   in Loop: Header=BB11_2 Depth=1
	scratch_load_dword v30, off, off offset:332 ; 4-byte Folded Reload
	v_bcnt_u32_b32 v20, v20, 0
	v_bcnt_u32_b32 v20, v31, v20
	s_waitcnt vmcnt(0)
	ds_add_u32 v30, v20
.LBB11_28:                              ;   in Loop: Header=BB11_2 Depth=1
	s_or_b64 exec, exec, s[94:95]
	v_readlane_b32 s94, v252, 28
	v_readlane_b32 s95, v252, 29
	v_cndmask_b32_e64 v42, 0, 1, s[24:25]
	s_nop 0
	v_cndmask_b32_e64 v20, 0, 1, s[94:95]
	v_cmp_ne_u32_e32 vcc, 0, v20
	s_nop 1
	v_xor_b32_e32 v20, vcc_hi, v17
	v_xor_b32_e32 v31, vcc_lo, v16
	v_cmp_ne_u32_e32 vcc, 0, v42
	v_and_b32_e32 v20, exec_hi, v20
	v_and_b32_e32 v31, exec_lo, v31
	v_xor_b32_e32 v42, vcc_hi, v225
	v_and_b32_e32 v20, v20, v42
	v_cndmask_b32_e64 v42, 0, 1, s[26:27]
	v_xor_b32_e32 v44, vcc_lo, v226
	v_cmp_ne_u32_e32 vcc, 0, v42
	v_and_b32_e32 v31, v31, v44
	s_nop 0
	v_xor_b32_e32 v42, vcc_hi, v227
	v_and_b32_e32 v20, v20, v42
	v_cndmask_b32_e64 v42, 0, 1, s[28:29]
	v_xor_b32_e32 v44, vcc_lo, v228
	v_cmp_ne_u32_e32 vcc, 0, v42
	v_and_b32_e32 v31, v31, v44
	s_nop 0
	;; [unrolled: 7-line block ×6, first 2 shown]
	v_xor_b32_e32 v42, vcc_hi, v237
	v_xor_b32_e32 v44, vcc_lo, v238
	v_and_b32_e32 v20, v20, v42
	v_and_b32_e32 v42, v31, v44
	v_cndmask_b32_e64 v31, 0, 1, s[40:41]
	v_cmp_ne_u32_e32 vcc, 0, v31
	s_nop 1
	v_xor_b32_e32 v31, vcc_hi, v239
	v_xor_b32_e32 v44, vcc_lo, v240
	v_and_b32_e32 v31, v20, v31
	v_and_b32_e32 v20, v42, v44
	v_mbcnt_lo_u32_b32 v42, v20, 0
	v_mbcnt_hi_u32_b32 v42, v31, v42
	v_cmp_eq_u32_e32 vcc, 0, v42
	s_and_saveexec_b64 s[94:95], vcc
	s_cbranch_execz .LBB11_30
; %bb.29:                               ;   in Loop: Header=BB11_2 Depth=1
	scratch_load_dword v30, off, off offset:336 ; 4-byte Folded Reload
	v_bcnt_u32_b32 v20, v20, 0
	v_bcnt_u32_b32 v20, v31, v20
	s_waitcnt vmcnt(0)
	ds_add_u32 v30, v20
.LBB11_30:                              ;   in Loop: Header=BB11_2 Depth=1
	s_or_b64 exec, exec, s[94:95]
	v_readlane_b32 s94, v252, 30
	v_readlane_b32 s95, v252, 31
	v_cndmask_b32_e64 v42, 0, 1, s[42:43]
	s_nop 0
	v_cndmask_b32_e64 v20, 0, 1, s[94:95]
	v_cmp_ne_u32_e32 vcc, 0, v20
	s_nop 1
	v_xor_b32_e32 v20, vcc_hi, v37
	v_xor_b32_e32 v31, vcc_lo, v36
	v_cmp_ne_u32_e32 vcc, 0, v42
	v_and_b32_e32 v20, exec_hi, v20
	v_and_b32_e32 v31, exec_lo, v31
	v_xor_b32_e32 v42, vcc_hi, v241
	v_and_b32_e32 v20, v20, v42
	v_cndmask_b32_e64 v42, 0, 1, s[44:45]
	v_xor_b32_e32 v44, vcc_lo, v242
	v_cmp_ne_u32_e32 vcc, 0, v42
	v_and_b32_e32 v31, v31, v44
	s_nop 0
	v_xor_b32_e32 v42, vcc_hi, v243
	v_and_b32_e32 v20, v20, v42
	v_cndmask_b32_e64 v42, 0, 1, s[46:47]
	v_xor_b32_e32 v44, vcc_lo, v244
	v_cmp_ne_u32_e32 vcc, 0, v42
	v_and_b32_e32 v31, v31, v44
	s_nop 0
	;; [unrolled: 7-line block ×6, first 2 shown]
	v_xor_b32_e32 v42, vcc_hi, v23
	v_xor_b32_e32 v44, vcc_lo, v2
	v_and_b32_e32 v20, v20, v42
	v_and_b32_e32 v42, v31, v44
	v_cndmask_b32_e64 v31, 0, 1, s[56:57]
	v_cmp_ne_u32_e32 vcc, 0, v31
	s_nop 1
	v_xor_b32_e32 v31, vcc_hi, v3
	v_xor_b32_e32 v44, vcc_lo, v4
	v_and_b32_e32 v31, v20, v31
	v_and_b32_e32 v20, v42, v44
	v_mbcnt_lo_u32_b32 v42, v20, 0
	v_mbcnt_hi_u32_b32 v42, v31, v42
	v_cmp_eq_u32_e32 vcc, 0, v42
	s_and_saveexec_b64 s[94:95], vcc
	s_cbranch_execz .LBB11_32
; %bb.31:                               ;   in Loop: Header=BB11_2 Depth=1
	scratch_load_dword v30, off, off offset:340 ; 4-byte Folded Reload
	v_bcnt_u32_b32 v20, v20, 0
	v_bcnt_u32_b32 v20, v31, v20
	s_waitcnt vmcnt(0)
	ds_add_u32 v30, v20
.LBB11_32:                              ;   in Loop: Header=BB11_2 Depth=1
	s_or_b64 exec, exec, s[94:95]
	v_readlane_b32 s94, v252, 32
	v_readlane_b32 s95, v252, 33
	v_cndmask_b32_e64 v42, 0, 1, s[58:59]
	v_mov_b32_e32 v30, v70
	v_cndmask_b32_e64 v20, 0, 1, s[94:95]
	v_cmp_ne_u32_e32 vcc, 0, v20
	s_nop 1
	v_xor_b32_e32 v20, vcc_hi, v39
	v_xor_b32_e32 v31, vcc_lo, v38
	v_cmp_ne_u32_e32 vcc, 0, v42
	v_and_b32_e32 v20, exec_hi, v20
	v_and_b32_e32 v31, exec_lo, v31
	v_xor_b32_e32 v42, vcc_hi, v25
	v_and_b32_e32 v20, v20, v42
	v_cndmask_b32_e64 v42, 0, 1, s[60:61]
	v_xor_b32_e32 v44, vcc_lo, v12
	v_cmp_ne_u32_e32 vcc, 0, v42
	v_and_b32_e32 v31, v31, v44
	s_nop 0
	v_xor_b32_e32 v42, vcc_hi, v5
	v_and_b32_e32 v20, v20, v42
	v_cndmask_b32_e64 v42, 0, 1, s[62:63]
	v_xor_b32_e32 v44, vcc_lo, v18
	v_cmp_ne_u32_e32 vcc, 0, v42
	v_and_b32_e32 v31, v31, v44
	s_nop 0
	;; [unrolled: 7-line block ×6, first 2 shown]
	v_xor_b32_e32 v42, vcc_hi, v19
	v_xor_b32_e32 v44, vcc_lo, v28
	v_and_b32_e32 v20, v20, v42
	v_and_b32_e32 v42, v31, v44
	v_cndmask_b32_e64 v31, 0, 1, s[72:73]
	v_cmp_ne_u32_e32 vcc, 0, v31
	s_nop 1
	v_xor_b32_e32 v31, vcc_hi, v41
	v_xor_b32_e32 v44, vcc_lo, v30
	v_and_b32_e32 v31, v20, v31
	v_and_b32_e32 v20, v42, v44
	v_mbcnt_lo_u32_b32 v42, v20, 0
	v_mbcnt_hi_u32_b32 v42, v31, v42
	v_cmp_eq_u32_e32 vcc, 0, v42
	s_and_saveexec_b64 s[94:95], vcc
	s_cbranch_execz .LBB11_34
; %bb.33:                               ;   in Loop: Header=BB11_2 Depth=1
	scratch_load_dword v30, off, off offset:344 ; 4-byte Folded Reload
	v_bcnt_u32_b32 v20, v20, 0
	v_bcnt_u32_b32 v20, v31, v20
	s_waitcnt vmcnt(0)
	ds_add_u32 v30, v20
.LBB11_34:                              ;   in Loop: Header=BB11_2 Depth=1
	s_or_b64 exec, exec, s[94:95]
	v_cndmask_b32_e64 v20, 0, 1, s[90:91]
	v_cmp_ne_u32_e32 vcc, 0, v20
	v_cndmask_b32_e64 v42, 0, 1, s[74:75]
	v_mov_b32_e32 v30, v72
	v_xor_b32_e32 v20, vcc_hi, v7
	v_xor_b32_e32 v31, vcc_lo, v6
	v_cmp_ne_u32_e32 vcc, 0, v42
	v_and_b32_e32 v20, exec_hi, v20
	v_and_b32_e32 v31, exec_lo, v31
	v_xor_b32_e32 v42, vcc_hi, v43
	v_and_b32_e32 v20, v20, v42
	v_cndmask_b32_e64 v42, 0, 1, s[76:77]
	v_xor_b32_e32 v44, vcc_lo, v30
	v_cmp_ne_u32_e32 vcc, 0, v42
	v_mov_b32_e32 v30, v80
	v_and_b32_e32 v31, v31, v44
	v_xor_b32_e32 v42, vcc_hi, v45
	v_and_b32_e32 v20, v20, v42
	v_cndmask_b32_e64 v42, 0, 1, s[78:79]
	v_xor_b32_e32 v44, vcc_lo, v30
	v_cmp_ne_u32_e32 vcc, 0, v42
	v_mov_b32_e32 v30, v82
	v_and_b32_e32 v31, v31, v44
	;; [unrolled: 7-line block ×6, first 2 shown]
	v_xor_b32_e32 v42, vcc_hi, v51
	v_xor_b32_e32 v44, vcc_lo, v30
	v_and_b32_e32 v20, v20, v42
	v_and_b32_e32 v42, v31, v44
	v_cndmask_b32_e64 v31, 0, 1, s[88:89]
	v_cmp_ne_u32_e32 vcc, 0, v31
	v_mov_b32_e32 v30, v88
	s_nop 0
	v_xor_b32_e32 v31, vcc_hi, v53
	v_xor_b32_e32 v44, vcc_lo, v30
	v_and_b32_e32 v31, v20, v31
	v_and_b32_e32 v20, v42, v44
	v_mbcnt_lo_u32_b32 v42, v20, 0
	v_mbcnt_hi_u32_b32 v42, v31, v42
	v_cmp_eq_u32_e32 vcc, 0, v42
	s_and_saveexec_b64 s[94:95], vcc
	s_cbranch_execz .LBB11_1
; %bb.35:                               ;   in Loop: Header=BB11_2 Depth=1
	scratch_load_dword v30, off, off offset:348 ; 4-byte Folded Reload
	v_bcnt_u32_b32 v20, v20, 0
	v_bcnt_u32_b32 v20, v31, v20
	s_waitcnt vmcnt(0)
	ds_add_u32 v30, v20
	s_branch .LBB11_1
.LBB11_36:
	s_and_saveexec_b64 s[0:1], s[92:93]
	s_cbranch_execz .LBB11_38
; %bb.37:
	scratch_load_dwordx2 v[4:5], off, off offset:412 ; 8-byte Folded Reload
	ds_read_b32 v2, v50
	v_readlane_b32 s0, v252, 0
	v_readlane_b32 s2, v252, 2
	;; [unrolled: 1-line block ×3, first 2 shown]
	s_waitcnt vmcnt(0)
	v_mov_b32_e32 v5, 0
	v_mov_b32_e32 v0, s2
	;; [unrolled: 1-line block ×3, first 2 shown]
	v_readlane_b32 s1, v252, 1
	v_lshl_add_u64 v[0:1], v[4:5], 2, v[0:1]
	s_waitcnt lgkmcnt(0)
	global_store_dword v[0:1], v2, off
.LBB11_38:
	s_endpgm
	.section	.rodata,"a",@progbits
	.p2align	6, 0x0
	.amdhsa_kernel _Z6kernelI9histogramILN6hipcub23BlockHistogramAlgorithmE0EEiLj320ELj16ELj320ELj100EEvPKT0_PS4_
		.amdhsa_group_segment_fixed_size 1280
		.amdhsa_private_segment_fixed_size 424
		.amdhsa_kernarg_size 16
		.amdhsa_user_sgpr_count 2
		.amdhsa_user_sgpr_dispatch_ptr 0
		.amdhsa_user_sgpr_queue_ptr 0
		.amdhsa_user_sgpr_kernarg_segment_ptr 1
		.amdhsa_user_sgpr_dispatch_id 0
		.amdhsa_user_sgpr_kernarg_preload_length 0
		.amdhsa_user_sgpr_kernarg_preload_offset 0
		.amdhsa_user_sgpr_private_segment_size 0
		.amdhsa_uses_dynamic_stack 0
		.amdhsa_enable_private_segment 1
		.amdhsa_system_sgpr_workgroup_id_x 1
		.amdhsa_system_sgpr_workgroup_id_y 0
		.amdhsa_system_sgpr_workgroup_id_z 0
		.amdhsa_system_sgpr_workgroup_info 0
		.amdhsa_system_vgpr_workitem_id 0
		.amdhsa_next_free_vgpr 256
		.amdhsa_next_free_sgpr 100
		.amdhsa_accum_offset 256
		.amdhsa_reserve_vcc 1
		.amdhsa_float_round_mode_32 0
		.amdhsa_float_round_mode_16_64 0
		.amdhsa_float_denorm_mode_32 3
		.amdhsa_float_denorm_mode_16_64 3
		.amdhsa_dx10_clamp 1
		.amdhsa_ieee_mode 1
		.amdhsa_fp16_overflow 0
		.amdhsa_tg_split 0
		.amdhsa_exception_fp_ieee_invalid_op 0
		.amdhsa_exception_fp_denorm_src 0
		.amdhsa_exception_fp_ieee_div_zero 0
		.amdhsa_exception_fp_ieee_overflow 0
		.amdhsa_exception_fp_ieee_underflow 0
		.amdhsa_exception_fp_ieee_inexact 0
		.amdhsa_exception_int_div_zero 0
	.end_amdhsa_kernel
	.section	.text._Z6kernelI9histogramILN6hipcub23BlockHistogramAlgorithmE0EEiLj320ELj16ELj320ELj100EEvPKT0_PS4_,"axG",@progbits,_Z6kernelI9histogramILN6hipcub23BlockHistogramAlgorithmE0EEiLj320ELj16ELj320ELj100EEvPKT0_PS4_,comdat
.Lfunc_end11:
	.size	_Z6kernelI9histogramILN6hipcub23BlockHistogramAlgorithmE0EEiLj320ELj16ELj320ELj100EEvPKT0_PS4_, .Lfunc_end11-_Z6kernelI9histogramILN6hipcub23BlockHistogramAlgorithmE0EEiLj320ELj16ELj320ELj100EEvPKT0_PS4_
                                        ; -- End function
	.section	.AMDGPU.csdata,"",@progbits
; Kernel info:
; codeLenInByte = 14404
; NumSgprs: 106
; NumVgprs: 256
; NumAgprs: 0
; TotalNumVgprs: 256
; ScratchSize: 424
; MemoryBound: 0
; FloatMode: 240
; IeeeMode: 1
; LDSByteSize: 1280 bytes/workgroup (compile time only)
; SGPRBlocks: 13
; VGPRBlocks: 31
; NumSGPRsForWavesPerEU: 106
; NumVGPRsForWavesPerEU: 256
; AccumOffset: 256
; Occupancy: 2
; WaveLimiterHint : 0
; COMPUTE_PGM_RSRC2:SCRATCH_EN: 1
; COMPUTE_PGM_RSRC2:USER_SGPR: 2
; COMPUTE_PGM_RSRC2:TRAP_HANDLER: 0
; COMPUTE_PGM_RSRC2:TGID_X_EN: 1
; COMPUTE_PGM_RSRC2:TGID_Y_EN: 0
; COMPUTE_PGM_RSRC2:TGID_Z_EN: 0
; COMPUTE_PGM_RSRC2:TIDIG_COMP_CNT: 0
; COMPUTE_PGM_RSRC3_GFX90A:ACCUM_OFFSET: 63
; COMPUTE_PGM_RSRC3_GFX90A:TG_SPLIT: 0
	.section	.text._Z6kernelI9histogramILN6hipcub23BlockHistogramAlgorithmE0EEiLj512ELj1ELj512ELj100EEvPKT0_PS4_,"axG",@progbits,_Z6kernelI9histogramILN6hipcub23BlockHistogramAlgorithmE0EEiLj512ELj1ELj512ELj100EEvPKT0_PS4_,comdat
	.protected	_Z6kernelI9histogramILN6hipcub23BlockHistogramAlgorithmE0EEiLj512ELj1ELj512ELj100EEvPKT0_PS4_ ; -- Begin function _Z6kernelI9histogramILN6hipcub23BlockHistogramAlgorithmE0EEiLj512ELj1ELj512ELj100EEvPKT0_PS4_
	.globl	_Z6kernelI9histogramILN6hipcub23BlockHistogramAlgorithmE0EEiLj512ELj1ELj512ELj100EEvPKT0_PS4_
	.p2align	8
	.type	_Z6kernelI9histogramILN6hipcub23BlockHistogramAlgorithmE0EEiLj512ELj1ELj512ELj100EEvPKT0_PS4_,@function
_Z6kernelI9histogramILN6hipcub23BlockHistogramAlgorithmE0EEiLj512ELj1ELj512ELj100EEvPKT0_PS4_: ; @_Z6kernelI9histogramILN6hipcub23BlockHistogramAlgorithmE0EEiLj512ELj1ELj512ELj100EEvPKT0_PS4_
; %bb.0:
	s_load_dwordx4 s[4:7], s[0:1], 0x0
	s_lshl_b32 s0, s2, 9
	v_or_b32_e32 v2, s0, v0
	v_mov_b32_e32 v3, 0
	s_movk_i32 s0, 0x200
	s_waitcnt lgkmcnt(0)
	v_mov_b32_e32 v4, s4
	v_mov_b32_e32 v5, s5
	v_lshl_add_u64 v[4:5], v[2:3], 2, v[4:5]
	global_load_dword v1, v[4:5], off
	v_cmp_gt_u32_e32 vcc, s0, v0
	v_mov_b32_e32 v6, v3
	v_mov_b32_e32 v8, v3
	;; [unrolled: 1-line block ×9, first 2 shown]
	v_lshlrev_b32_e32 v22, 2, v0
	s_movk_i32 s4, 0x64
	s_waitcnt vmcnt(0)
	v_and_b32_e32 v4, 1, v1
	v_lshlrev_b32_e32 v7, 30, v1
	v_cmp_eq_u32_e64 s[0:1], 1, v4
	v_lshlrev_b32_e32 v9, 29, v1
	v_lshlrev_b32_e32 v11, 28, v1
	v_cndmask_b32_e64 v24, 0, 1, s[0:1]
	v_cmp_gt_i64_e64 s[0:1], 0, v[6:7]
	v_lshlrev_b32_e32 v13, 27, v1
	v_lshlrev_b32_e32 v15, 26, v1
	v_cndmask_b32_e64 v25, 0, 1, s[0:1]
	v_cmp_gt_i64_e64 s[0:1], 0, v[8:9]
	;; [unrolled: 4-line block ×4, first 2 shown]
	v_lshl_add_u64 v[0:1], v[4:5], 0, -1
	v_not_b32_e32 v5, v7
	v_cndmask_b32_e64 v28, 0, 1, s[0:1]
	v_cmp_gt_i64_e64 s[0:1], 0, v[14:15]
	v_not_b32_e32 v32, v9
	v_not_b32_e32 v33, v11
	v_cndmask_b32_e64 v29, 0, 1, s[0:1]
	v_cmp_gt_i64_e64 s[0:1], 0, v[16:17]
	v_not_b32_e32 v34, v13
	v_not_b32_e32 v35, v15
	;; [unrolled: 1-line block ×5, first 2 shown]
	v_cndmask_b32_e64 v30, 0, 1, s[0:1]
	v_cmp_gt_i64_e64 s[0:1], 0, v[18:19]
	v_ashrrev_i32_e32 v4, 31, v5
	v_ashrrev_i32_e32 v6, 31, v32
	v_cndmask_b32_e64 v31, 0, 1, s[0:1]
	v_ashrrev_i32_e32 v8, 31, v33
	v_ashrrev_i32_e32 v10, 31, v34
	;; [unrolled: 1-line block ×6, first 2 shown]
	v_cmp_gt_i64_e64 s[0:1], 0, v[20:21]
	v_mov_b32_e32 v5, v4
	v_mov_b32_e32 v7, v6
	;; [unrolled: 1-line block ×8, first 2 shown]
	v_cndmask_b32_e64 v32, 0, 1, s[0:1]
	s_branch .LBB12_2
.LBB12_1:                               ;   in Loop: Header=BB12_2 Depth=1
	s_or_b64 exec, exec, s[2:3]
	s_add_i32 s4, s4, -1
	s_cmp_eq_u32 s4, 0
	s_waitcnt lgkmcnt(0)
	s_barrier
	s_cbranch_scc1 .LBB12_6
.LBB12_2:                               ; =>This Inner Loop Header: Depth=1
	s_and_saveexec_b64 s[0:1], vcc
	s_cbranch_execz .LBB12_4
; %bb.3:                                ;   in Loop: Header=BB12_2 Depth=1
	ds_write_b32 v22, v3
.LBB12_4:                               ;   in Loop: Header=BB12_2 Depth=1
	s_or_b64 exec, exec, s[0:1]
	v_cmp_ne_u32_e64 s[0:1], 0, v24
	s_waitcnt lgkmcnt(0)
	s_barrier
	v_xor_b32_e32 v20, s1, v1
	v_xor_b32_e32 v21, s0, v0
	v_cmp_ne_u32_e64 s[0:1], 0, v25
	v_and_b32_e32 v20, exec_hi, v20
	v_and_b32_e32 v21, exec_lo, v21
	v_xor_b32_e32 v33, s1, v5
	v_xor_b32_e32 v34, s0, v4
	v_cmp_ne_u32_e64 s[0:1], 0, v26
	v_and_b32_e32 v20, v20, v33
	v_and_b32_e32 v21, v21, v34
	v_xor_b32_e32 v33, s1, v7
	v_xor_b32_e32 v34, s0, v6
	v_cmp_ne_u32_e64 s[0:1], 0, v27
	v_and_b32_e32 v20, v20, v33
	v_and_b32_e32 v21, v21, v34
	;; [unrolled: 5-line block ×7, first 2 shown]
	v_xor_b32_e32 v21, s1, v19
	v_xor_b32_e32 v34, s0, v18
	v_and_b32_e32 v21, v20, v21
	v_and_b32_e32 v20, v33, v34
	v_mbcnt_lo_u32_b32 v33, v20, 0
	v_mbcnt_hi_u32_b32 v33, v21, v33
	v_cmp_eq_u32_e64 s[0:1], 0, v33
	s_and_saveexec_b64 s[2:3], s[0:1]
	s_cbranch_execz .LBB12_1
; %bb.5:                                ;   in Loop: Header=BB12_2 Depth=1
	v_bcnt_u32_b32 v20, v20, 0
	v_bcnt_u32_b32 v20, v21, v20
	ds_add_u32 v23, v20
	s_branch .LBB12_1
.LBB12_6:
	s_and_saveexec_b64 s[0:1], vcc
	s_cbranch_execz .LBB12_8
; %bb.7:
	ds_read_b32 v4, v22
	v_mov_b32_e32 v0, s6
	v_mov_b32_e32 v1, s7
	;; [unrolled: 1-line block ×3, first 2 shown]
	v_lshl_add_u64 v[0:1], v[2:3], 2, v[0:1]
	s_waitcnt lgkmcnt(0)
	global_store_dword v[0:1], v4, off
.LBB12_8:
	s_endpgm
	.section	.rodata,"a",@progbits
	.p2align	6, 0x0
	.amdhsa_kernel _Z6kernelI9histogramILN6hipcub23BlockHistogramAlgorithmE0EEiLj512ELj1ELj512ELj100EEvPKT0_PS4_
		.amdhsa_group_segment_fixed_size 2048
		.amdhsa_private_segment_fixed_size 0
		.amdhsa_kernarg_size 16
		.amdhsa_user_sgpr_count 2
		.amdhsa_user_sgpr_dispatch_ptr 0
		.amdhsa_user_sgpr_queue_ptr 0
		.amdhsa_user_sgpr_kernarg_segment_ptr 1
		.amdhsa_user_sgpr_dispatch_id 0
		.amdhsa_user_sgpr_kernarg_preload_length 0
		.amdhsa_user_sgpr_kernarg_preload_offset 0
		.amdhsa_user_sgpr_private_segment_size 0
		.amdhsa_uses_dynamic_stack 0
		.amdhsa_enable_private_segment 0
		.amdhsa_system_sgpr_workgroup_id_x 1
		.amdhsa_system_sgpr_workgroup_id_y 0
		.amdhsa_system_sgpr_workgroup_id_z 0
		.amdhsa_system_sgpr_workgroup_info 0
		.amdhsa_system_vgpr_workitem_id 0
		.amdhsa_next_free_vgpr 39
		.amdhsa_next_free_sgpr 8
		.amdhsa_accum_offset 40
		.amdhsa_reserve_vcc 1
		.amdhsa_float_round_mode_32 0
		.amdhsa_float_round_mode_16_64 0
		.amdhsa_float_denorm_mode_32 3
		.amdhsa_float_denorm_mode_16_64 3
		.amdhsa_dx10_clamp 1
		.amdhsa_ieee_mode 1
		.amdhsa_fp16_overflow 0
		.amdhsa_tg_split 0
		.amdhsa_exception_fp_ieee_invalid_op 0
		.amdhsa_exception_fp_denorm_src 0
		.amdhsa_exception_fp_ieee_div_zero 0
		.amdhsa_exception_fp_ieee_overflow 0
		.amdhsa_exception_fp_ieee_underflow 0
		.amdhsa_exception_fp_ieee_inexact 0
		.amdhsa_exception_int_div_zero 0
	.end_amdhsa_kernel
	.section	.text._Z6kernelI9histogramILN6hipcub23BlockHistogramAlgorithmE0EEiLj512ELj1ELj512ELj100EEvPKT0_PS4_,"axG",@progbits,_Z6kernelI9histogramILN6hipcub23BlockHistogramAlgorithmE0EEiLj512ELj1ELj512ELj100EEvPKT0_PS4_,comdat
.Lfunc_end12:
	.size	_Z6kernelI9histogramILN6hipcub23BlockHistogramAlgorithmE0EEiLj512ELj1ELj512ELj100EEvPKT0_PS4_, .Lfunc_end12-_Z6kernelI9histogramILN6hipcub23BlockHistogramAlgorithmE0EEiLj512ELj1ELj512ELj100EEvPKT0_PS4_
                                        ; -- End function
	.section	.AMDGPU.csdata,"",@progbits
; Kernel info:
; codeLenInByte = 776
; NumSgprs: 14
; NumVgprs: 39
; NumAgprs: 0
; TotalNumVgprs: 39
; ScratchSize: 0
; MemoryBound: 0
; FloatMode: 240
; IeeeMode: 1
; LDSByteSize: 2048 bytes/workgroup (compile time only)
; SGPRBlocks: 1
; VGPRBlocks: 4
; NumSGPRsForWavesPerEU: 14
; NumVGPRsForWavesPerEU: 39
; AccumOffset: 40
; Occupancy: 8
; WaveLimiterHint : 0
; COMPUTE_PGM_RSRC2:SCRATCH_EN: 0
; COMPUTE_PGM_RSRC2:USER_SGPR: 2
; COMPUTE_PGM_RSRC2:TRAP_HANDLER: 0
; COMPUTE_PGM_RSRC2:TGID_X_EN: 1
; COMPUTE_PGM_RSRC2:TGID_Y_EN: 0
; COMPUTE_PGM_RSRC2:TGID_Z_EN: 0
; COMPUTE_PGM_RSRC2:TIDIG_COMP_CNT: 0
; COMPUTE_PGM_RSRC3_GFX90A:ACCUM_OFFSET: 9
; COMPUTE_PGM_RSRC3_GFX90A:TG_SPLIT: 0
	.section	.text._Z6kernelI9histogramILN6hipcub23BlockHistogramAlgorithmE0EEiLj512ELj2ELj512ELj100EEvPKT0_PS4_,"axG",@progbits,_Z6kernelI9histogramILN6hipcub23BlockHistogramAlgorithmE0EEiLj512ELj2ELj512ELj100EEvPKT0_PS4_,comdat
	.protected	_Z6kernelI9histogramILN6hipcub23BlockHistogramAlgorithmE0EEiLj512ELj2ELj512ELj100EEvPKT0_PS4_ ; -- Begin function _Z6kernelI9histogramILN6hipcub23BlockHistogramAlgorithmE0EEiLj512ELj2ELj512ELj100EEvPKT0_PS4_
	.globl	_Z6kernelI9histogramILN6hipcub23BlockHistogramAlgorithmE0EEiLj512ELj2ELj512ELj100EEvPKT0_PS4_
	.p2align	8
	.type	_Z6kernelI9histogramILN6hipcub23BlockHistogramAlgorithmE0EEiLj512ELj2ELj512ELj100EEvPKT0_PS4_,@function
_Z6kernelI9histogramILN6hipcub23BlockHistogramAlgorithmE0EEiLj512ELj2ELj512ELj100EEvPKT0_PS4_: ; @_Z6kernelI9histogramILN6hipcub23BlockHistogramAlgorithmE0EEiLj512ELj2ELj512ELj100EEvPKT0_PS4_
; %bb.0:
	s_load_dwordx4 s[40:43], s[0:1], 0x0
	v_lshlrev_b32_e32 v1, 1, v0
	v_lshl_or_b32 v2, s2, 10, v1
	v_mov_b32_e32 v3, 0
	v_mov_b32_e32 v24, v3
	s_waitcnt lgkmcnt(0)
	v_mov_b32_e32 v4, s40
	v_mov_b32_e32 v5, s41
	v_lshl_add_u64 v[4:5], v[2:3], 2, v[4:5]
	global_load_dwordx2 v[38:39], v[4:5], off
	v_mov_b32_e32 v26, v3
	v_mov_b32_e32 v32, v3
	s_movk_i32 s0, 0x200
	v_mov_b32_e32 v6, v3
	v_mov_b32_e32 v8, v3
	;; [unrolled: 1-line block ×10, first 2 shown]
	v_cmp_gt_u32_e32 vcc, s0, v0
	v_mov_b32_e32 v22, v3
	v_mov_b32_e32 v30, v3
	;; [unrolled: 1-line block ×3, first 2 shown]
	v_lshlrev_b32_e32 v40, 2, v0
	s_movk_i32 s3, 0x64
	s_waitcnt vmcnt(0)
	v_lshlrev_b32_e32 v25, 29, v39
	v_lshlrev_b32_e32 v27, 28, v39
	v_cmp_gt_i64_e64 s[20:21], 0, v[24:25]
	v_not_b32_e32 v24, v25
	v_not_b32_e32 v25, v27
	v_lshlrev_b32_e32 v33, 25, v39
	v_cmp_gt_i64_e64 s[22:23], 0, v[26:27]
	v_ashrrev_i32_e32 v26, 31, v25
	v_not_b32_e32 v25, v33
	v_lshlrev_b32_e32 v35, 24, v39
	v_and_b32_e32 v2, 1, v38
	v_lshlrev_b32_e32 v7, 30, v38
	v_lshlrev_b32_e32 v9, 29, v38
	v_lshlrev_b32_e32 v11, 28, v38
	v_lshlrev_b32_e32 v13, 27, v38
	v_lshlrev_b32_e32 v15, 26, v38
	v_lshlrev_b32_e32 v17, 25, v38
	v_lshlrev_b32_e32 v19, 24, v38
	v_lshlrev_b32_e32 v21, 23, v38
	v_lshlrev_b32_e32 v23, 30, v39
	v_lshlrev_b32_e32 v29, 27, v39
	v_lshlrev_b32_e32 v31, 26, v39
	v_cmp_gt_i64_e64 s[30:31], 0, v[32:33]
	v_ashrrev_i32_e32 v32, 31, v25
	v_not_b32_e32 v25, v35
	v_lshlrev_b32_e32 v37, 23, v39
	v_lshl_add_u64 v[4:5], v[2:3], 0, -1
	v_cmp_eq_u32_e64 s[0:1], 1, v2
	v_cmp_gt_i64_e64 s[38:39], 0, v[6:7]
	v_not_b32_e32 v1, v7
	v_cmp_gt_i64_e64 s[4:5], 0, v[8:9]
	v_not_b32_e32 v7, v9
	;; [unrolled: 2-line block ×8, first 2 shown]
	v_and_b32_e32 v2, 1, v39
	v_not_b32_e32 v21, v23
	v_cmp_gt_i64_e64 s[24:25], 0, v[28:29]
	v_not_b32_e32 v27, v29
	v_not_b32_e32 v29, v31
	v_cmp_gt_i64_e64 s[34:35], 0, v[34:35]
	v_ashrrev_i32_e32 v34, 31, v25
	v_not_b32_e32 v25, v37
	v_cmp_gt_i64_e64 s[18:19], 0, v[22:23]
	v_cmp_gt_i64_e64 s[26:27], 0, v[30:31]
	v_ashrrev_i32_e32 v6, 31, v1
	v_ashrrev_i32_e32 v8, 31, v7
	;; [unrolled: 1-line block ×8, first 2 shown]
	v_lshl_add_u64 v[22:23], v[2:3], 0, -1
	v_cmp_eq_u32_e64 s[28:29], 1, v2
	v_ashrrev_i32_e32 v2, 31, v21
	v_ashrrev_i32_e32 v24, 31, v24
	;; [unrolled: 1-line block ×4, first 2 shown]
	v_cmp_gt_i64_e64 s[36:37], 0, v[36:37]
	v_ashrrev_i32_e32 v36, 31, v25
	v_mov_b32_e32 v1, v6
	v_mov_b32_e32 v7, v8
	;; [unrolled: 1-line block ×9, first 2 shown]
	v_lshlrev_b32_e32 v41, 2, v38
	v_lshlrev_b32_e32 v42, 2, v39
	v_mov_b32_e32 v25, v24
	v_mov_b32_e32 v27, v26
	;; [unrolled: 1-line block ×7, first 2 shown]
	s_branch .LBB13_2
.LBB13_1:                               ;   in Loop: Header=BB13_2 Depth=1
	s_or_b64 exec, exec, s[44:45]
	s_add_i32 s3, s3, -1
	s_cmp_eq_u32 s3, 0
	s_waitcnt lgkmcnt(0)
	s_barrier
	s_cbranch_scc1 .LBB13_8
.LBB13_2:                               ; =>This Inner Loop Header: Depth=1
	s_and_saveexec_b64 s[40:41], vcc
	s_cbranch_execz .LBB13_4
; %bb.3:                                ;   in Loop: Header=BB13_2 Depth=1
	ds_write_b32 v40, v3
.LBB13_4:                               ;   in Loop: Header=BB13_2 Depth=1
	s_or_b64 exec, exec, s[40:41]
	v_cndmask_b32_e64 v38, 0, 1, s[0:1]
	v_cmp_ne_u32_e64 s[40:41], 0, v38
	v_cndmask_b32_e64 v43, 0, 1, s[38:39]
	s_waitcnt lgkmcnt(0)
	v_xor_b32_e32 v38, s41, v5
	v_xor_b32_e32 v39, s40, v4
	v_cmp_ne_u32_e64 s[40:41], 0, v43
	v_and_b32_e32 v38, exec_hi, v38
	v_and_b32_e32 v39, exec_lo, v39
	v_xor_b32_e32 v43, s41, v1
	v_and_b32_e32 v38, v38, v43
	v_cndmask_b32_e64 v43, 0, 1, s[4:5]
	v_xor_b32_e32 v44, s40, v6
	v_cmp_ne_u32_e64 s[40:41], 0, v43
	v_and_b32_e32 v39, v39, v44
	s_barrier
	v_xor_b32_e32 v43, s41, v7
	v_and_b32_e32 v38, v38, v43
	v_cndmask_b32_e64 v43, 0, 1, s[6:7]
	v_xor_b32_e32 v44, s40, v8
	v_cmp_ne_u32_e64 s[40:41], 0, v43
	v_and_b32_e32 v39, v39, v44
	s_nop 0
	v_xor_b32_e32 v43, s41, v9
	v_and_b32_e32 v38, v38, v43
	v_cndmask_b32_e64 v43, 0, 1, s[8:9]
	v_xor_b32_e32 v44, s40, v10
	v_cmp_ne_u32_e64 s[40:41], 0, v43
	v_and_b32_e32 v39, v39, v44
	s_nop 0
	;; [unrolled: 7-line block ×5, first 2 shown]
	v_xor_b32_e32 v43, s41, v17
	v_xor_b32_e32 v44, s40, v18
	v_and_b32_e32 v38, v38, v43
	v_and_b32_e32 v43, v39, v44
	v_cndmask_b32_e64 v39, 0, 1, s[16:17]
	v_cmp_ne_u32_e64 s[40:41], 0, v39
	s_nop 1
	v_xor_b32_e32 v39, s41, v19
	v_xor_b32_e32 v44, s40, v20
	v_and_b32_e32 v39, v38, v39
	v_and_b32_e32 v38, v43, v44
	v_mbcnt_lo_u32_b32 v43, v38, 0
	v_mbcnt_hi_u32_b32 v43, v39, v43
	v_cmp_eq_u32_e64 s[40:41], 0, v43
	s_and_saveexec_b64 s[44:45], s[40:41]
	s_cbranch_execz .LBB13_6
; %bb.5:                                ;   in Loop: Header=BB13_2 Depth=1
	v_bcnt_u32_b32 v38, v38, 0
	v_bcnt_u32_b32 v38, v39, v38
	ds_add_u32 v41, v38
.LBB13_6:                               ;   in Loop: Header=BB13_2 Depth=1
	s_or_b64 exec, exec, s[44:45]
	v_cndmask_b32_e64 v38, 0, 1, s[28:29]
	v_cmp_ne_u32_e64 s[40:41], 0, v38
	v_cndmask_b32_e64 v43, 0, 1, s[18:19]
	s_nop 0
	v_xor_b32_e32 v38, s41, v23
	v_xor_b32_e32 v39, s40, v22
	v_cmp_ne_u32_e64 s[40:41], 0, v43
	v_and_b32_e32 v38, exec_hi, v38
	v_and_b32_e32 v39, exec_lo, v39
	v_xor_b32_e32 v43, s41, v21
	v_and_b32_e32 v38, v38, v43
	v_cndmask_b32_e64 v43, 0, 1, s[20:21]
	v_xor_b32_e32 v44, s40, v2
	v_cmp_ne_u32_e64 s[40:41], 0, v43
	v_and_b32_e32 v39, v39, v44
	s_nop 0
	v_xor_b32_e32 v43, s41, v25
	v_and_b32_e32 v38, v38, v43
	v_cndmask_b32_e64 v43, 0, 1, s[22:23]
	v_xor_b32_e32 v44, s40, v24
	v_cmp_ne_u32_e64 s[40:41], 0, v43
	v_and_b32_e32 v39, v39, v44
	s_nop 0
	;; [unrolled: 7-line block ×6, first 2 shown]
	v_xor_b32_e32 v43, s41, v35
	v_xor_b32_e32 v44, s40, v34
	v_and_b32_e32 v38, v38, v43
	v_and_b32_e32 v43, v39, v44
	v_cndmask_b32_e64 v39, 0, 1, s[36:37]
	v_cmp_ne_u32_e64 s[40:41], 0, v39
	s_nop 1
	v_xor_b32_e32 v39, s41, v37
	v_xor_b32_e32 v44, s40, v36
	v_and_b32_e32 v39, v38, v39
	v_and_b32_e32 v38, v43, v44
	v_mbcnt_lo_u32_b32 v43, v38, 0
	v_mbcnt_hi_u32_b32 v43, v39, v43
	v_cmp_eq_u32_e64 s[40:41], 0, v43
	s_and_saveexec_b64 s[44:45], s[40:41]
	s_cbranch_execz .LBB13_1
; %bb.7:                                ;   in Loop: Header=BB13_2 Depth=1
	v_bcnt_u32_b32 v38, v38, 0
	v_bcnt_u32_b32 v38, v39, v38
	ds_add_u32 v42, v38
	s_branch .LBB13_1
.LBB13_8:
	s_and_saveexec_b64 s[0:1], vcc
	s_cbranch_execz .LBB13_10
; %bb.9:
	ds_read_b32 v4, v40
	v_mov_b32_e32 v2, s42
	v_mov_b32_e32 v3, s43
	v_lshl_or_b32 v0, s2, 9, v0
	v_mov_b32_e32 v1, 0
	v_lshl_add_u64 v[0:1], v[0:1], 2, v[2:3]
	s_waitcnt lgkmcnt(0)
	global_store_dword v[0:1], v4, off
.LBB13_10:
	s_endpgm
	.section	.rodata,"a",@progbits
	.p2align	6, 0x0
	.amdhsa_kernel _Z6kernelI9histogramILN6hipcub23BlockHistogramAlgorithmE0EEiLj512ELj2ELj512ELj100EEvPKT0_PS4_
		.amdhsa_group_segment_fixed_size 2048
		.amdhsa_private_segment_fixed_size 0
		.amdhsa_kernarg_size 16
		.amdhsa_user_sgpr_count 2
		.amdhsa_user_sgpr_dispatch_ptr 0
		.amdhsa_user_sgpr_queue_ptr 0
		.amdhsa_user_sgpr_kernarg_segment_ptr 1
		.amdhsa_user_sgpr_dispatch_id 0
		.amdhsa_user_sgpr_kernarg_preload_length 0
		.amdhsa_user_sgpr_kernarg_preload_offset 0
		.amdhsa_user_sgpr_private_segment_size 0
		.amdhsa_uses_dynamic_stack 0
		.amdhsa_enable_private_segment 0
		.amdhsa_system_sgpr_workgroup_id_x 1
		.amdhsa_system_sgpr_workgroup_id_y 0
		.amdhsa_system_sgpr_workgroup_id_z 0
		.amdhsa_system_sgpr_workgroup_info 0
		.amdhsa_system_vgpr_workitem_id 0
		.amdhsa_next_free_vgpr 45
		.amdhsa_next_free_sgpr 46
		.amdhsa_accum_offset 48
		.amdhsa_reserve_vcc 1
		.amdhsa_float_round_mode_32 0
		.amdhsa_float_round_mode_16_64 0
		.amdhsa_float_denorm_mode_32 3
		.amdhsa_float_denorm_mode_16_64 3
		.amdhsa_dx10_clamp 1
		.amdhsa_ieee_mode 1
		.amdhsa_fp16_overflow 0
		.amdhsa_tg_split 0
		.amdhsa_exception_fp_ieee_invalid_op 0
		.amdhsa_exception_fp_denorm_src 0
		.amdhsa_exception_fp_ieee_div_zero 0
		.amdhsa_exception_fp_ieee_overflow 0
		.amdhsa_exception_fp_ieee_underflow 0
		.amdhsa_exception_fp_ieee_inexact 0
		.amdhsa_exception_int_div_zero 0
	.end_amdhsa_kernel
	.section	.text._Z6kernelI9histogramILN6hipcub23BlockHistogramAlgorithmE0EEiLj512ELj2ELj512ELj100EEvPKT0_PS4_,"axG",@progbits,_Z6kernelI9histogramILN6hipcub23BlockHistogramAlgorithmE0EEiLj512ELj2ELj512ELj100EEvPKT0_PS4_,comdat
.Lfunc_end13:
	.size	_Z6kernelI9histogramILN6hipcub23BlockHistogramAlgorithmE0EEiLj512ELj2ELj512ELj100EEvPKT0_PS4_, .Lfunc_end13-_Z6kernelI9histogramILN6hipcub23BlockHistogramAlgorithmE0EEiLj512ELj2ELj512ELj100EEvPKT0_PS4_
                                        ; -- End function
	.section	.AMDGPU.csdata,"",@progbits
; Kernel info:
; codeLenInByte = 1436
; NumSgprs: 52
; NumVgprs: 45
; NumAgprs: 0
; TotalNumVgprs: 45
; ScratchSize: 0
; MemoryBound: 0
; FloatMode: 240
; IeeeMode: 1
; LDSByteSize: 2048 bytes/workgroup (compile time only)
; SGPRBlocks: 6
; VGPRBlocks: 5
; NumSGPRsForWavesPerEU: 52
; NumVGPRsForWavesPerEU: 45
; AccumOffset: 48
; Occupancy: 8
; WaveLimiterHint : 0
; COMPUTE_PGM_RSRC2:SCRATCH_EN: 0
; COMPUTE_PGM_RSRC2:USER_SGPR: 2
; COMPUTE_PGM_RSRC2:TRAP_HANDLER: 0
; COMPUTE_PGM_RSRC2:TGID_X_EN: 1
; COMPUTE_PGM_RSRC2:TGID_Y_EN: 0
; COMPUTE_PGM_RSRC2:TGID_Z_EN: 0
; COMPUTE_PGM_RSRC2:TIDIG_COMP_CNT: 0
; COMPUTE_PGM_RSRC3_GFX90A:ACCUM_OFFSET: 11
; COMPUTE_PGM_RSRC3_GFX90A:TG_SPLIT: 0
	.section	.text._Z6kernelI9histogramILN6hipcub23BlockHistogramAlgorithmE0EEiLj512ELj3ELj512ELj100EEvPKT0_PS4_,"axG",@progbits,_Z6kernelI9histogramILN6hipcub23BlockHistogramAlgorithmE0EEiLj512ELj3ELj512ELj100EEvPKT0_PS4_,comdat
	.protected	_Z6kernelI9histogramILN6hipcub23BlockHistogramAlgorithmE0EEiLj512ELj3ELj512ELj100EEvPKT0_PS4_ ; -- Begin function _Z6kernelI9histogramILN6hipcub23BlockHistogramAlgorithmE0EEiLj512ELj3ELj512ELj100EEvPKT0_PS4_
	.globl	_Z6kernelI9histogramILN6hipcub23BlockHistogramAlgorithmE0EEiLj512ELj3ELj512ELj100EEvPKT0_PS4_
	.p2align	8
	.type	_Z6kernelI9histogramILN6hipcub23BlockHistogramAlgorithmE0EEiLj512ELj3ELj512ELj100EEvPKT0_PS4_,@function
_Z6kernelI9histogramILN6hipcub23BlockHistogramAlgorithmE0EEiLj512ELj3ELj512ELj100EEvPKT0_PS4_: ; @_Z6kernelI9histogramILN6hipcub23BlockHistogramAlgorithmE0EEiLj512ELj3ELj512ELj100EEvPKT0_PS4_
; %bb.0:
	s_load_dwordx4 s[56:59], s[0:1], 0x0
	s_lshl_b32 s0, s2, 9
	v_or_b32_e32 v2, s0, v0
	v_lshl_add_u32 v4, v2, 1, v2
	v_mov_b32_e32 v5, 0
	s_waitcnt lgkmcnt(0)
	v_lshl_add_u64 v[6:7], v[4:5], 2, s[56:57]
	global_load_dword v1, v[6:7], off
	v_mov_b32_e32 v7, v5
	v_add_u32_e32 v6, 1, v4
	v_lshl_add_u64 v[6:7], v[6:7], 2, s[56:57]
	v_add_u32_e32 v4, 2, v4
	global_load_dword v3, v[6:7], off
	v_lshl_add_u64 v[6:7], v[4:5], 2, s[56:57]
	global_load_dword v35, v[6:7], off
	v_mov_b32_e32 v8, v5
	v_mov_b32_e32 v10, v5
	;; [unrolled: 1-line block ×5, first 2 shown]
	s_movk_i32 s0, 0x200
	v_mov_b32_e32 v48, v5
	v_cmp_gt_u32_e32 vcc, s0, v0
	v_mov_b32_e32 v12, v5
	v_mov_b32_e32 v14, v5
	;; [unrolled: 1-line block ×18, first 2 shown]
	s_movk_i32 s33, 0x64
	s_waitcnt vmcnt(2)
	v_lshlrev_b32_e32 v9, 30, v1
	v_lshlrev_b32_e32 v11, 29, v1
	v_cmp_gt_i64_e64 s[2:3], 0, v[8:9]
	v_not_b32_e32 v8, v9
	v_not_b32_e32 v9, v11
	v_cmp_gt_i64_e64 s[4:5], 0, v[10:11]
	v_ashrrev_i32_e32 v10, 31, v9
	s_waitcnt vmcnt(0)
	v_lshlrev_b32_e32 v43, 30, v35
	v_not_b32_e32 v9, v43
	v_lshlrev_b32_e32 v45, 29, v35
	v_cmp_gt_i64_e64 s[40:41], 0, v[42:43]
	v_ashrrev_i32_e32 v42, 31, v9
	v_not_b32_e32 v9, v45
	v_lshlrev_b32_e32 v47, 28, v35
	v_cmp_gt_i64_e64 s[42:43], 0, v[44:45]
	v_ashrrev_i32_e32 v44, 31, v9
	v_not_b32_e32 v9, v47
	v_lshlrev_b32_e32 v49, 27, v35
	v_and_b32_e32 v4, 1, v1
	v_cmp_gt_i64_e64 s[44:45], 0, v[46:47]
	v_ashrrev_i32_e32 v46, 31, v9
	v_not_b32_e32 v9, v49
	v_lshlrev_b32_e32 v51, 26, v35
	v_lshlrev_b32_e32 v13, 28, v1
	v_lshlrev_b32_e32 v15, 27, v1
	v_lshlrev_b32_e32 v17, 26, v1
	v_lshlrev_b32_e32 v19, 25, v1
	v_lshlrev_b32_e32 v21, 24, v1
	v_lshlrev_b32_e32 v23, 23, v1
	v_lshlrev_b32_e32 v25, 30, v3
	v_lshl_add_u64 v[6:7], v[4:5], 0, -1
	v_cmp_eq_u32_e64 s[0:1], 1, v4
	v_and_b32_e32 v4, 1, v3
	v_lshlrev_b32_e32 v37, 25, v3
	v_cmp_gt_i64_e64 s[46:47], 0, v[48:49]
	v_ashrrev_i32_e32 v48, 31, v9
	v_not_b32_e32 v9, v51
	v_lshlrev_b32_e32 v53, 25, v35
	v_cmp_gt_i64_e64 s[6:7], 0, v[12:13]
	v_not_b32_e32 v11, v13
	v_cmp_gt_i64_e64 s[8:9], 0, v[14:15]
	v_not_b32_e32 v13, v15
	v_cmp_gt_i64_e64 s[10:11], 0, v[16:17]
	v_not_b32_e32 v15, v17
	v_cmp_gt_i64_e64 s[12:13], 0, v[18:19]
	v_not_b32_e32 v17, v19
	v_cmp_gt_i64_e64 s[14:15], 0, v[20:21]
	v_not_b32_e32 v19, v21
	v_cmp_gt_i64_e64 s[16:17], 0, v[22:23]
	v_not_b32_e32 v21, v23
	v_cmp_gt_i64_e64 s[18:19], 0, v[24:25]
	v_not_b32_e32 v23, v25
	v_lshl_add_u64 v[24:25], v[4:5], 0, -1
	v_cmp_eq_u32_e64 s[28:29], 1, v4
	v_not_b32_e32 v4, v37
	v_lshlrev_b32_e32 v39, 24, v3
	v_cmp_gt_i64_e64 s[48:49], 0, v[50:51]
	v_ashrrev_i32_e32 v50, 31, v9
	v_not_b32_e32 v9, v53
	v_lshlrev_b32_e32 v55, 24, v35
	v_lshlrev_b32_e32 v27, 29, v3
	;; [unrolled: 1-line block ×5, first 2 shown]
	v_cmp_gt_i64_e64 s[30:31], 0, v[36:37]
	v_ashrrev_i32_e32 v36, 31, v4
	v_not_b32_e32 v4, v39
	v_lshlrev_b32_e32 v41, 23, v3
	v_cmp_gt_i64_e64 s[50:51], 0, v[52:53]
	v_ashrrev_i32_e32 v52, 31, v9
	v_not_b32_e32 v9, v55
	v_lshlrev_b32_e32 v57, 23, v35
	v_cmp_gt_i64_e64 s[20:21], 0, v[26:27]
	v_not_b32_e32 v27, v27
	v_cmp_gt_i64_e64 s[22:23], 0, v[28:29]
	v_not_b32_e32 v29, v29
	;; [unrolled: 2-line block ×4, first 2 shown]
	v_cmp_gt_i64_e64 s[34:35], 0, v[38:39]
	v_ashrrev_i32_e32 v38, 31, v4
	v_not_b32_e32 v4, v41
	v_cmp_gt_i64_e64 s[52:53], 0, v[54:55]
	v_ashrrev_i32_e32 v54, 31, v9
	v_not_b32_e32 v9, v57
	v_ashrrev_i32_e32 v8, 31, v8
	v_ashrrev_i32_e32 v12, 31, v11
	;; [unrolled: 1-line block ×12, first 2 shown]
	v_cmp_gt_i64_e64 s[36:37], 0, v[40:41]
	v_ashrrev_i32_e32 v40, 31, v4
	v_and_b32_e32 v4, 1, v35
	v_cmp_gt_i64_e64 s[54:55], 0, v[56:57]
	v_ashrrev_i32_e32 v56, 31, v9
	v_cmp_eq_u32_e64 s[38:39], 1, v4
	v_lshlrev_b32_e32 v57, 2, v0
	v_lshlrev_b32_e32 v60, 2, v1
	;; [unrolled: 1-line block ×4, first 2 shown]
	v_mov_b32_e32 v1, v8
	v_mov_b32_e32 v3, v10
	v_mov_b32_e32 v9, v12
	v_mov_b32_e32 v11, v14
	v_mov_b32_e32 v13, v16
	v_mov_b32_e32 v15, v18
	v_mov_b32_e32 v17, v20
	v_mov_b32_e32 v19, v22
	v_mov_b32_e32 v21, v26
	v_mov_b32_e32 v23, v28
	v_mov_b32_e32 v27, v30
	v_mov_b32_e32 v29, v32
	v_mov_b32_e32 v31, v34
	v_mov_b32_e32 v33, v36
	v_mov_b32_e32 v35, v38
	v_mov_b32_e32 v37, v40
	v_lshl_add_u64 v[58:59], v[4:5], 0, -1
	v_mov_b32_e32 v39, v42
	v_mov_b32_e32 v41, v44
	v_mov_b32_e32 v43, v46
	v_mov_b32_e32 v45, v48
	v_mov_b32_e32 v47, v50
	v_mov_b32_e32 v49, v52
	v_mov_b32_e32 v51, v54
	v_mov_b32_e32 v53, v56
	s_branch .LBB14_2
.LBB14_1:                               ;   in Loop: Header=BB14_2 Depth=1
	s_or_b64 exec, exec, s[60:61]
	s_add_i32 s33, s33, -1
	s_cmp_eq_u32 s33, 0
	s_waitcnt lgkmcnt(0)
	s_barrier
	s_cbranch_scc1 .LBB14_10
.LBB14_2:                               ; =>This Inner Loop Header: Depth=1
	s_and_saveexec_b64 s[56:57], vcc
	s_cbranch_execz .LBB14_4
; %bb.3:                                ;   in Loop: Header=BB14_2 Depth=1
	ds_write_b32 v57, v5
.LBB14_4:                               ;   in Loop: Header=BB14_2 Depth=1
	s_or_b64 exec, exec, s[56:57]
	v_cndmask_b32_e64 v0, 0, 1, s[0:1]
	v_cmp_ne_u32_e64 s[56:57], 0, v0
	v_cndmask_b32_e64 v55, 0, 1, s[2:3]
	s_waitcnt lgkmcnt(0)
	v_xor_b32_e32 v0, s57, v7
	v_xor_b32_e32 v4, s56, v6
	v_cmp_ne_u32_e64 s[56:57], 0, v55
	v_and_b32_e32 v0, exec_hi, v0
	v_and_b32_e32 v4, exec_lo, v4
	v_xor_b32_e32 v55, s57, v1
	v_and_b32_e32 v0, v0, v55
	v_cndmask_b32_e64 v55, 0, 1, s[4:5]
	v_xor_b32_e32 v63, s56, v8
	v_cmp_ne_u32_e64 s[56:57], 0, v55
	v_and_b32_e32 v4, v4, v63
	s_barrier
	v_xor_b32_e32 v55, s57, v3
	v_and_b32_e32 v0, v0, v55
	v_cndmask_b32_e64 v55, 0, 1, s[6:7]
	v_xor_b32_e32 v63, s56, v10
	v_cmp_ne_u32_e64 s[56:57], 0, v55
	v_and_b32_e32 v4, v4, v63
	s_nop 0
	v_xor_b32_e32 v55, s57, v9
	v_and_b32_e32 v0, v0, v55
	v_cndmask_b32_e64 v55, 0, 1, s[8:9]
	v_xor_b32_e32 v63, s56, v12
	v_cmp_ne_u32_e64 s[56:57], 0, v55
	v_and_b32_e32 v4, v4, v63
	s_nop 0
	;; [unrolled: 7-line block ×6, first 2 shown]
	v_xor_b32_e32 v55, s57, v19
	v_xor_b32_e32 v63, s56, v22
	v_and_b32_e32 v55, v0, v55
	v_and_b32_e32 v0, v4, v63
	v_mbcnt_lo_u32_b32 v4, v0, 0
	v_mbcnt_hi_u32_b32 v4, v55, v4
	v_cmp_eq_u32_e64 s[56:57], 0, v4
	s_and_saveexec_b64 s[60:61], s[56:57]
	s_cbranch_execz .LBB14_6
; %bb.5:                                ;   in Loop: Header=BB14_2 Depth=1
	v_bcnt_u32_b32 v0, v0, 0
	v_bcnt_u32_b32 v0, v55, v0
	ds_add_u32 v60, v0
.LBB14_6:                               ;   in Loop: Header=BB14_2 Depth=1
	s_or_b64 exec, exec, s[60:61]
	v_cndmask_b32_e64 v0, 0, 1, s[28:29]
	v_cmp_ne_u32_e64 s[56:57], 0, v0
	v_cndmask_b32_e64 v55, 0, 1, s[18:19]
	s_nop 0
	v_xor_b32_e32 v0, s57, v25
	v_xor_b32_e32 v4, s56, v24
	v_cmp_ne_u32_e64 s[56:57], 0, v55
	v_and_b32_e32 v0, exec_hi, v0
	v_and_b32_e32 v4, exec_lo, v4
	v_xor_b32_e32 v55, s57, v21
	v_and_b32_e32 v0, v0, v55
	v_cndmask_b32_e64 v55, 0, 1, s[20:21]
	v_xor_b32_e32 v63, s56, v26
	v_cmp_ne_u32_e64 s[56:57], 0, v55
	v_and_b32_e32 v4, v4, v63
	s_nop 0
	v_xor_b32_e32 v55, s57, v23
	v_and_b32_e32 v0, v0, v55
	v_cndmask_b32_e64 v55, 0, 1, s[22:23]
	v_xor_b32_e32 v63, s56, v28
	v_cmp_ne_u32_e64 s[56:57], 0, v55
	v_and_b32_e32 v4, v4, v63
	s_nop 0
	;; [unrolled: 7-line block ×7, first 2 shown]
	v_xor_b32_e32 v55, s57, v37
	v_xor_b32_e32 v63, s56, v40
	v_and_b32_e32 v55, v0, v55
	v_and_b32_e32 v0, v4, v63
	v_mbcnt_lo_u32_b32 v4, v0, 0
	v_mbcnt_hi_u32_b32 v4, v55, v4
	v_cmp_eq_u32_e64 s[56:57], 0, v4
	s_and_saveexec_b64 s[60:61], s[56:57]
	s_cbranch_execz .LBB14_8
; %bb.7:                                ;   in Loop: Header=BB14_2 Depth=1
	v_bcnt_u32_b32 v0, v0, 0
	v_bcnt_u32_b32 v0, v55, v0
	ds_add_u32 v61, v0
.LBB14_8:                               ;   in Loop: Header=BB14_2 Depth=1
	s_or_b64 exec, exec, s[60:61]
	v_cndmask_b32_e64 v0, 0, 1, s[38:39]
	v_cmp_ne_u32_e64 s[56:57], 0, v0
	v_cndmask_b32_e64 v55, 0, 1, s[40:41]
	s_nop 0
	v_xor_b32_e32 v0, s57, v59
	v_xor_b32_e32 v4, s56, v58
	v_cmp_ne_u32_e64 s[56:57], 0, v55
	v_and_b32_e32 v0, exec_hi, v0
	v_and_b32_e32 v4, exec_lo, v4
	v_xor_b32_e32 v55, s57, v39
	v_and_b32_e32 v0, v0, v55
	v_cndmask_b32_e64 v55, 0, 1, s[42:43]
	v_xor_b32_e32 v63, s56, v42
	v_cmp_ne_u32_e64 s[56:57], 0, v55
	v_and_b32_e32 v4, v4, v63
	s_nop 0
	v_xor_b32_e32 v55, s57, v41
	v_and_b32_e32 v0, v0, v55
	v_cndmask_b32_e64 v55, 0, 1, s[44:45]
	v_xor_b32_e32 v63, s56, v44
	v_cmp_ne_u32_e64 s[56:57], 0, v55
	v_and_b32_e32 v4, v4, v63
	s_nop 0
	;; [unrolled: 7-line block ×7, first 2 shown]
	v_xor_b32_e32 v55, s57, v53
	v_xor_b32_e32 v63, s56, v56
	v_and_b32_e32 v55, v0, v55
	v_and_b32_e32 v0, v4, v63
	v_mbcnt_lo_u32_b32 v4, v0, 0
	v_mbcnt_hi_u32_b32 v4, v55, v4
	v_cmp_eq_u32_e64 s[56:57], 0, v4
	s_and_saveexec_b64 s[60:61], s[56:57]
	s_cbranch_execz .LBB14_1
; %bb.9:                                ;   in Loop: Header=BB14_2 Depth=1
	v_bcnt_u32_b32 v0, v0, 0
	v_bcnt_u32_b32 v0, v55, v0
	ds_add_u32 v62, v0
	s_branch .LBB14_1
.LBB14_10:
	s_and_saveexec_b64 s[0:1], vcc
	s_cbranch_execz .LBB14_12
; %bb.11:
	ds_read_b32 v4, v57
	v_mov_b32_e32 v0, s58
	v_mov_b32_e32 v1, s59
	;; [unrolled: 1-line block ×3, first 2 shown]
	v_lshl_add_u64 v[0:1], v[2:3], 2, v[0:1]
	s_waitcnt lgkmcnt(0)
	global_store_dword v[0:1], v4, off
.LBB14_12:
	s_endpgm
	.section	.rodata,"a",@progbits
	.p2align	6, 0x0
	.amdhsa_kernel _Z6kernelI9histogramILN6hipcub23BlockHistogramAlgorithmE0EEiLj512ELj3ELj512ELj100EEvPKT0_PS4_
		.amdhsa_group_segment_fixed_size 2048
		.amdhsa_private_segment_fixed_size 0
		.amdhsa_kernarg_size 16
		.amdhsa_user_sgpr_count 2
		.amdhsa_user_sgpr_dispatch_ptr 0
		.amdhsa_user_sgpr_queue_ptr 0
		.amdhsa_user_sgpr_kernarg_segment_ptr 1
		.amdhsa_user_sgpr_dispatch_id 0
		.amdhsa_user_sgpr_kernarg_preload_length 0
		.amdhsa_user_sgpr_kernarg_preload_offset 0
		.amdhsa_user_sgpr_private_segment_size 0
		.amdhsa_uses_dynamic_stack 0
		.amdhsa_enable_private_segment 0
		.amdhsa_system_sgpr_workgroup_id_x 1
		.amdhsa_system_sgpr_workgroup_id_y 0
		.amdhsa_system_sgpr_workgroup_id_z 0
		.amdhsa_system_sgpr_workgroup_info 0
		.amdhsa_system_vgpr_workitem_id 0
		.amdhsa_next_free_vgpr 64
		.amdhsa_next_free_sgpr 62
		.amdhsa_accum_offset 64
		.amdhsa_reserve_vcc 1
		.amdhsa_float_round_mode_32 0
		.amdhsa_float_round_mode_16_64 0
		.amdhsa_float_denorm_mode_32 3
		.amdhsa_float_denorm_mode_16_64 3
		.amdhsa_dx10_clamp 1
		.amdhsa_ieee_mode 1
		.amdhsa_fp16_overflow 0
		.amdhsa_tg_split 0
		.amdhsa_exception_fp_ieee_invalid_op 0
		.amdhsa_exception_fp_denorm_src 0
		.amdhsa_exception_fp_ieee_div_zero 0
		.amdhsa_exception_fp_ieee_overflow 0
		.amdhsa_exception_fp_ieee_underflow 0
		.amdhsa_exception_fp_ieee_inexact 0
		.amdhsa_exception_int_div_zero 0
	.end_amdhsa_kernel
	.section	.text._Z6kernelI9histogramILN6hipcub23BlockHistogramAlgorithmE0EEiLj512ELj3ELj512ELj100EEvPKT0_PS4_,"axG",@progbits,_Z6kernelI9histogramILN6hipcub23BlockHistogramAlgorithmE0EEiLj512ELj3ELj512ELj100EEvPKT0_PS4_,comdat
.Lfunc_end14:
	.size	_Z6kernelI9histogramILN6hipcub23BlockHistogramAlgorithmE0EEiLj512ELj3ELj512ELj100EEvPKT0_PS4_, .Lfunc_end14-_Z6kernelI9histogramILN6hipcub23BlockHistogramAlgorithmE0EEiLj512ELj3ELj512ELj100EEvPKT0_PS4_
                                        ; -- End function
	.section	.AMDGPU.csdata,"",@progbits
; Kernel info:
; codeLenInByte = 2100
; NumSgprs: 68
; NumVgprs: 64
; NumAgprs: 0
; TotalNumVgprs: 64
; ScratchSize: 0
; MemoryBound: 0
; FloatMode: 240
; IeeeMode: 1
; LDSByteSize: 2048 bytes/workgroup (compile time only)
; SGPRBlocks: 8
; VGPRBlocks: 7
; NumSGPRsForWavesPerEU: 68
; NumVGPRsForWavesPerEU: 64
; AccumOffset: 64
; Occupancy: 8
; WaveLimiterHint : 0
; COMPUTE_PGM_RSRC2:SCRATCH_EN: 0
; COMPUTE_PGM_RSRC2:USER_SGPR: 2
; COMPUTE_PGM_RSRC2:TRAP_HANDLER: 0
; COMPUTE_PGM_RSRC2:TGID_X_EN: 1
; COMPUTE_PGM_RSRC2:TGID_Y_EN: 0
; COMPUTE_PGM_RSRC2:TGID_Z_EN: 0
; COMPUTE_PGM_RSRC2:TIDIG_COMP_CNT: 0
; COMPUTE_PGM_RSRC3_GFX90A:ACCUM_OFFSET: 15
; COMPUTE_PGM_RSRC3_GFX90A:TG_SPLIT: 0
	.section	.text._Z6kernelI9histogramILN6hipcub23BlockHistogramAlgorithmE0EEiLj512ELj4ELj512ELj100EEvPKT0_PS4_,"axG",@progbits,_Z6kernelI9histogramILN6hipcub23BlockHistogramAlgorithmE0EEiLj512ELj4ELj512ELj100EEvPKT0_PS4_,comdat
	.protected	_Z6kernelI9histogramILN6hipcub23BlockHistogramAlgorithmE0EEiLj512ELj4ELj512ELj100EEvPKT0_PS4_ ; -- Begin function _Z6kernelI9histogramILN6hipcub23BlockHistogramAlgorithmE0EEiLj512ELj4ELj512ELj100EEvPKT0_PS4_
	.globl	_Z6kernelI9histogramILN6hipcub23BlockHistogramAlgorithmE0EEiLj512ELj4ELj512ELj100EEvPKT0_PS4_
	.p2align	8
	.type	_Z6kernelI9histogramILN6hipcub23BlockHistogramAlgorithmE0EEiLj512ELj4ELj512ELj100EEvPKT0_PS4_,@function
_Z6kernelI9histogramILN6hipcub23BlockHistogramAlgorithmE0EEiLj512ELj4ELj512ELj100EEvPKT0_PS4_: ; @_Z6kernelI9histogramILN6hipcub23BlockHistogramAlgorithmE0EEiLj512ELj4ELj512ELj100EEvPKT0_PS4_
; %bb.0:
	s_load_dwordx4 s[76:79], s[0:1], 0x0
	v_lshlrev_b32_e32 v76, 2, v0
	v_lshl_or_b32 v6, s2, 11, v76
	v_mov_b32_e32 v7, 0
	v_mov_b32_e32 v10, v7
	s_waitcnt lgkmcnt(0)
	v_mov_b32_e32 v2, s76
	v_mov_b32_e32 v3, s77
	v_lshl_add_u64 v[2:3], v[6:7], 2, v[2:3]
	global_load_dwordx4 v[2:5], v[2:3], off
	v_mov_b32_e32 v12, v7
	v_mov_b32_e32 v14, v7
	;; [unrolled: 1-line block ×31, first 2 shown]
	s_movk_i32 s3, 0x200
	v_cmp_gt_u32_e64 s[70:71], s3, v0
	s_movk_i32 s3, 0x64
	s_waitcnt vmcnt(0)
	v_and_b32_e32 v6, 1, v2
	v_lshl_add_u64 v[8:9], v[6:7], 0, -1
	v_cmp_eq_u32_e32 vcc, 1, v6
	v_and_b32_e32 v6, 1, v3
	v_lshlrev_b32_e32 v11, 30, v2
	v_lshlrev_b32_e32 v13, 29, v2
	;; [unrolled: 1-line block ×18, first 2 shown]
	v_lshl_add_u64 v[2:3], v[6:7], 0, -1
	v_cmp_eq_u32_e64 s[24:25], 1, v6
	v_and_b32_e32 v6, 1, v4
	v_lshlrev_b32_e32 v43, 30, v4
	v_lshlrev_b32_e32 v45, 29, v4
	;; [unrolled: 1-line block ×17, first 2 shown]
	v_cmp_gt_i64_e64 s[0:1], 0, v[10:11]
	v_not_b32_e32 v1, v11
	v_cmp_gt_i64_e64 s[74:75], 0, v[12:13]
	v_not_b32_e32 v12, v13
	;; [unrolled: 2-line block ×11, first 2 shown]
	v_lshl_add_u64 v[10:11], v[6:7], 0, -1
	v_cmp_eq_u32_e64 s[26:27], 1, v6
	v_and_b32_e32 v6, 1, v5
	v_not_b32_e32 v5, v33
	v_not_b32_e32 v31, v35
	v_lshlrev_b32_e32 v79, 2, v4
	v_cmp_gt_i64_e64 s[22:23], 0, v[32:33]
	v_cmp_gt_i64_e64 s[28:29], 0, v[34:35]
	;; [unrolled: 1-line block ×3, first 2 shown]
	v_not_b32_e32 v33, v37
	v_cmp_gt_i64_e64 s[34:35], 0, v[38:39]
	v_not_b32_e32 v35, v39
	v_cmp_gt_i64_e64 s[36:37], 0, v[40:41]
	;; [unrolled: 2-line block ×4, first 2 shown]
	v_not_b32_e32 v41, v45
	v_not_b32_e32 v43, v47
	v_ashrrev_i32_e32 v4, 31, v1
	v_not_b32_e32 v1, v49
	v_not_b32_e32 v45, v51
	v_ashrrev_i32_e32 v14, 31, v13
	v_not_b32_e32 v13, v53
	v_ashrrev_i32_e32 v16, 31, v15
	;; [unrolled: 2-line block ×11, first 2 shown]
	v_not_b32_e32 v31, v73
	v_cmp_gt_i64_e64 s[42:43], 0, v[46:47]
	v_cmp_gt_i64_e64 s[44:45], 0, v[48:49]
	v_ashrrev_i32_e32 v12, 31, v12
	v_cmp_gt_i64_e64 s[46:47], 0, v[50:51]
	v_cmp_gt_i64_e64 s[48:49], 0, v[52:53]
	v_cmp_gt_i64_e64 s[50:51], 0, v[54:55]
	v_cmp_gt_i64_e64 s[52:53], 0, v[56:57]
	v_cmp_gt_i64_e64 s[54:55], 0, v[58:59]
	v_cmp_gt_i64_e64 s[56:57], 0, v[60:61]
	v_cmp_gt_i64_e64 s[58:59], 0, v[62:63]
	v_cmp_gt_i64_e64 s[60:61], 0, v[64:65]
	v_cmp_gt_i64_e64 s[62:63], 0, v[66:67]
	v_cmp_gt_i64_e64 s[64:65], 0, v[68:69]
	v_cmp_gt_i64_e64 s[66:67], 0, v[70:71]
	v_cmp_gt_i64_e64 s[68:69], 0, v[72:73]
	v_ashrrev_i32_e32 v36, 31, v33
	v_ashrrev_i32_e32 v38, 31, v35
	;; [unrolled: 1-line block ×19, first 2 shown]
	v_cmp_eq_u32_e64 s[72:73], 1, v6
	v_mov_b32_e32 v1, v4
	v_mov_b32_e32 v5, v12
	;; [unrolled: 1-line block ×24, first 2 shown]
	v_lshl_add_u64 v[74:75], v[6:7], 0, -1
	v_mov_b32_e32 v57, v58
	v_mov_b32_e32 v59, v60
	;; [unrolled: 1-line block ×8, first 2 shown]
	s_branch .LBB15_2
.LBB15_1:                               ;   in Loop: Header=BB15_2 Depth=1
	s_or_b64 exec, exec, s[80:81]
	s_add_i32 s3, s3, -1
	s_cmp_eq_u32 s3, 0
	s_waitcnt lgkmcnt(0)
	s_barrier
	s_cbranch_scc1 .LBB15_12
.LBB15_2:                               ; =>This Inner Loop Header: Depth=1
	s_and_saveexec_b64 s[76:77], s[70:71]
	s_cbranch_execz .LBB15_4
; %bb.3:                                ;   in Loop: Header=BB15_2 Depth=1
	ds_write_b32 v76, v7
.LBB15_4:                               ;   in Loop: Header=BB15_2 Depth=1
	s_or_b64 exec, exec, s[76:77]
	v_cndmask_b32_e64 v6, 0, 1, vcc
	v_cmp_ne_u32_e64 s[76:77], 0, v6
	v_cndmask_b32_e64 v81, 0, 1, s[0:1]
	s_waitcnt lgkmcnt(0)
	v_xor_b32_e32 v6, s77, v9
	v_xor_b32_e32 v73, s76, v8
	v_cmp_ne_u32_e64 s[76:77], 0, v81
	v_and_b32_e32 v6, exec_hi, v6
	v_and_b32_e32 v73, exec_lo, v73
	v_xor_b32_e32 v81, s77, v1
	v_and_b32_e32 v6, v6, v81
	v_cndmask_b32_e64 v81, 0, 1, s[74:75]
	v_xor_b32_e32 v82, s76, v4
	v_cmp_ne_u32_e64 s[76:77], 0, v81
	v_and_b32_e32 v73, v73, v82
	s_barrier
	v_xor_b32_e32 v81, s77, v5
	v_and_b32_e32 v6, v6, v81
	v_cndmask_b32_e64 v81, 0, 1, s[4:5]
	v_xor_b32_e32 v82, s76, v12
	v_cmp_ne_u32_e64 s[76:77], 0, v81
	v_and_b32_e32 v73, v73, v82
	s_nop 0
	v_xor_b32_e32 v81, s77, v13
	v_and_b32_e32 v6, v6, v81
	v_cndmask_b32_e64 v81, 0, 1, s[6:7]
	v_xor_b32_e32 v82, s76, v14
	v_cmp_ne_u32_e64 s[76:77], 0, v81
	v_and_b32_e32 v73, v73, v82
	s_nop 0
	;; [unrolled: 7-line block ×5, first 2 shown]
	v_xor_b32_e32 v81, s77, v21
	v_xor_b32_e32 v82, s76, v22
	v_and_b32_e32 v6, v6, v81
	v_and_b32_e32 v81, v73, v82
	v_cndmask_b32_e64 v73, 0, 1, s[14:15]
	v_cmp_ne_u32_e64 s[76:77], 0, v73
	s_nop 1
	v_xor_b32_e32 v73, s77, v23
	v_xor_b32_e32 v82, s76, v24
	v_and_b32_e32 v73, v6, v73
	v_and_b32_e32 v6, v81, v82
	v_mbcnt_lo_u32_b32 v81, v6, 0
	v_mbcnt_hi_u32_b32 v81, v73, v81
	v_cmp_eq_u32_e64 s[76:77], 0, v81
	s_and_saveexec_b64 s[80:81], s[76:77]
	s_cbranch_execz .LBB15_6
; %bb.5:                                ;   in Loop: Header=BB15_2 Depth=1
	v_bcnt_u32_b32 v6, v6, 0
	v_bcnt_u32_b32 v6, v73, v6
	ds_add_u32 v77, v6
.LBB15_6:                               ;   in Loop: Header=BB15_2 Depth=1
	s_or_b64 exec, exec, s[80:81]
	v_cndmask_b32_e64 v6, 0, 1, s[24:25]
	v_cmp_ne_u32_e64 s[76:77], 0, v6
	v_cndmask_b32_e64 v81, 0, 1, s[16:17]
	s_nop 0
	v_xor_b32_e32 v6, s77, v3
	v_xor_b32_e32 v73, s76, v2
	v_cmp_ne_u32_e64 s[76:77], 0, v81
	v_and_b32_e32 v6, exec_hi, v6
	v_and_b32_e32 v73, exec_lo, v73
	v_xor_b32_e32 v81, s77, v25
	v_and_b32_e32 v6, v6, v81
	v_cndmask_b32_e64 v81, 0, 1, s[18:19]
	v_xor_b32_e32 v82, s76, v26
	v_cmp_ne_u32_e64 s[76:77], 0, v81
	v_and_b32_e32 v73, v73, v82
	s_nop 0
	v_xor_b32_e32 v81, s77, v27
	v_and_b32_e32 v6, v6, v81
	v_cndmask_b32_e64 v81, 0, 1, s[20:21]
	v_xor_b32_e32 v82, s76, v28
	v_cmp_ne_u32_e64 s[76:77], 0, v81
	v_and_b32_e32 v73, v73, v82
	s_nop 0
	;; [unrolled: 7-line block ×6, first 2 shown]
	v_xor_b32_e32 v81, s77, v37
	v_xor_b32_e32 v82, s76, v38
	v_and_b32_e32 v6, v6, v81
	v_and_b32_e32 v81, v73, v82
	v_cndmask_b32_e64 v73, 0, 1, s[36:37]
	v_cmp_ne_u32_e64 s[76:77], 0, v73
	s_nop 1
	v_xor_b32_e32 v73, s77, v39
	v_xor_b32_e32 v82, s76, v40
	v_and_b32_e32 v73, v6, v73
	v_and_b32_e32 v6, v81, v82
	v_mbcnt_lo_u32_b32 v81, v6, 0
	v_mbcnt_hi_u32_b32 v81, v73, v81
	v_cmp_eq_u32_e64 s[76:77], 0, v81
	s_and_saveexec_b64 s[80:81], s[76:77]
	s_cbranch_execz .LBB15_8
; %bb.7:                                ;   in Loop: Header=BB15_2 Depth=1
	v_bcnt_u32_b32 v6, v6, 0
	v_bcnt_u32_b32 v6, v73, v6
	ds_add_u32 v78, v6
.LBB15_8:                               ;   in Loop: Header=BB15_2 Depth=1
	s_or_b64 exec, exec, s[80:81]
	v_cndmask_b32_e64 v6, 0, 1, s[26:27]
	v_cmp_ne_u32_e64 s[76:77], 0, v6
	v_cndmask_b32_e64 v81, 0, 1, s[38:39]
	s_nop 0
	v_xor_b32_e32 v6, s77, v11
	v_xor_b32_e32 v73, s76, v10
	v_cmp_ne_u32_e64 s[76:77], 0, v81
	v_and_b32_e32 v6, exec_hi, v6
	v_and_b32_e32 v73, exec_lo, v73
	v_xor_b32_e32 v81, s77, v41
	v_and_b32_e32 v6, v6, v81
	v_cndmask_b32_e64 v81, 0, 1, s[40:41]
	v_xor_b32_e32 v82, s76, v42
	v_cmp_ne_u32_e64 s[76:77], 0, v81
	v_and_b32_e32 v73, v73, v82
	s_nop 0
	v_xor_b32_e32 v81, s77, v43
	v_and_b32_e32 v6, v6, v81
	v_cndmask_b32_e64 v81, 0, 1, s[42:43]
	v_xor_b32_e32 v82, s76, v44
	v_cmp_ne_u32_e64 s[76:77], 0, v81
	v_and_b32_e32 v73, v73, v82
	s_nop 0
	;; [unrolled: 7-line block ×6, first 2 shown]
	v_xor_b32_e32 v81, s77, v53
	v_xor_b32_e32 v82, s76, v54
	v_and_b32_e32 v6, v6, v81
	v_and_b32_e32 v81, v73, v82
	v_cndmask_b32_e64 v73, 0, 1, s[52:53]
	v_cmp_ne_u32_e64 s[76:77], 0, v73
	s_nop 1
	v_xor_b32_e32 v73, s77, v55
	v_xor_b32_e32 v82, s76, v56
	v_and_b32_e32 v73, v6, v73
	v_and_b32_e32 v6, v81, v82
	v_mbcnt_lo_u32_b32 v81, v6, 0
	v_mbcnt_hi_u32_b32 v81, v73, v81
	v_cmp_eq_u32_e64 s[76:77], 0, v81
	s_and_saveexec_b64 s[80:81], s[76:77]
	s_cbranch_execz .LBB15_10
; %bb.9:                                ;   in Loop: Header=BB15_2 Depth=1
	v_bcnt_u32_b32 v6, v6, 0
	v_bcnt_u32_b32 v6, v73, v6
	ds_add_u32 v79, v6
.LBB15_10:                              ;   in Loop: Header=BB15_2 Depth=1
	s_or_b64 exec, exec, s[80:81]
	v_cndmask_b32_e64 v6, 0, 1, s[72:73]
	v_cmp_ne_u32_e64 s[76:77], 0, v6
	v_cndmask_b32_e64 v81, 0, 1, s[54:55]
	s_nop 0
	v_xor_b32_e32 v6, s77, v75
	v_xor_b32_e32 v73, s76, v74
	v_cmp_ne_u32_e64 s[76:77], 0, v81
	v_and_b32_e32 v6, exec_hi, v6
	v_and_b32_e32 v73, exec_lo, v73
	v_xor_b32_e32 v81, s77, v57
	v_and_b32_e32 v6, v6, v81
	v_cndmask_b32_e64 v81, 0, 1, s[56:57]
	v_xor_b32_e32 v82, s76, v58
	v_cmp_ne_u32_e64 s[76:77], 0, v81
	v_and_b32_e32 v73, v73, v82
	s_nop 0
	v_xor_b32_e32 v81, s77, v59
	v_and_b32_e32 v6, v6, v81
	v_cndmask_b32_e64 v81, 0, 1, s[58:59]
	v_xor_b32_e32 v82, s76, v60
	v_cmp_ne_u32_e64 s[76:77], 0, v81
	v_and_b32_e32 v73, v73, v82
	s_nop 0
	v_xor_b32_e32 v81, s77, v61
	v_and_b32_e32 v6, v6, v81
	v_cndmask_b32_e64 v81, 0, 1, s[60:61]
	v_xor_b32_e32 v82, s76, v62
	v_cmp_ne_u32_e64 s[76:77], 0, v81
	v_and_b32_e32 v73, v73, v82
	s_nop 0
	v_xor_b32_e32 v81, s77, v63
	v_and_b32_e32 v6, v6, v81
	v_cndmask_b32_e64 v81, 0, 1, s[62:63]
	v_xor_b32_e32 v82, s76, v64
	v_cmp_ne_u32_e64 s[76:77], 0, v81
	v_and_b32_e32 v73, v73, v82
	s_nop 0
	v_xor_b32_e32 v81, s77, v65
	v_and_b32_e32 v6, v6, v81
	v_cndmask_b32_e64 v81, 0, 1, s[64:65]
	v_xor_b32_e32 v82, s76, v66
	v_cmp_ne_u32_e64 s[76:77], 0, v81
	v_and_b32_e32 v73, v73, v82
	s_nop 0
	v_xor_b32_e32 v81, s77, v67
	v_and_b32_e32 v6, v6, v81
	v_cndmask_b32_e64 v81, 0, 1, s[66:67]
	v_xor_b32_e32 v82, s76, v68
	v_cmp_ne_u32_e64 s[76:77], 0, v81
	v_and_b32_e32 v73, v73, v82
	s_nop 0
	v_xor_b32_e32 v81, s77, v69
	v_xor_b32_e32 v82, s76, v70
	v_and_b32_e32 v6, v6, v81
	v_and_b32_e32 v81, v73, v82
	v_cndmask_b32_e64 v73, 0, 1, s[68:69]
	v_cmp_ne_u32_e64 s[76:77], 0, v73
	s_nop 1
	v_xor_b32_e32 v73, s77, v71
	v_xor_b32_e32 v82, s76, v72
	v_and_b32_e32 v73, v6, v73
	v_and_b32_e32 v6, v81, v82
	v_mbcnt_lo_u32_b32 v81, v6, 0
	v_mbcnt_hi_u32_b32 v81, v73, v81
	v_cmp_eq_u32_e64 s[76:77], 0, v81
	s_and_saveexec_b64 s[80:81], s[76:77]
	s_cbranch_execz .LBB15_1
; %bb.11:                               ;   in Loop: Header=BB15_2 Depth=1
	v_bcnt_u32_b32 v6, v6, 0
	v_bcnt_u32_b32 v6, v73, v6
	ds_add_u32 v80, v6
	s_branch .LBB15_1
.LBB15_12:
	s_and_saveexec_b64 s[0:1], s[70:71]
	s_cbranch_execz .LBB15_14
; %bb.13:
	ds_read_b32 v4, v76
	v_mov_b32_e32 v2, s78
	v_mov_b32_e32 v3, s79
	v_lshl_or_b32 v0, s2, 9, v0
	v_mov_b32_e32 v1, 0
	v_lshl_add_u64 v[0:1], v[0:1], 2, v[2:3]
	s_waitcnt lgkmcnt(0)
	global_store_dword v[0:1], v4, off
.LBB15_14:
	s_endpgm
	.section	.rodata,"a",@progbits
	.p2align	6, 0x0
	.amdhsa_kernel _Z6kernelI9histogramILN6hipcub23BlockHistogramAlgorithmE0EEiLj512ELj4ELj512ELj100EEvPKT0_PS4_
		.amdhsa_group_segment_fixed_size 2048
		.amdhsa_private_segment_fixed_size 0
		.amdhsa_kernarg_size 16
		.amdhsa_user_sgpr_count 2
		.amdhsa_user_sgpr_dispatch_ptr 0
		.amdhsa_user_sgpr_queue_ptr 0
		.amdhsa_user_sgpr_kernarg_segment_ptr 1
		.amdhsa_user_sgpr_dispatch_id 0
		.amdhsa_user_sgpr_kernarg_preload_length 0
		.amdhsa_user_sgpr_kernarg_preload_offset 0
		.amdhsa_user_sgpr_private_segment_size 0
		.amdhsa_uses_dynamic_stack 0
		.amdhsa_enable_private_segment 0
		.amdhsa_system_sgpr_workgroup_id_x 1
		.amdhsa_system_sgpr_workgroup_id_y 0
		.amdhsa_system_sgpr_workgroup_id_z 0
		.amdhsa_system_sgpr_workgroup_info 0
		.amdhsa_system_vgpr_workitem_id 0
		.amdhsa_next_free_vgpr 83
		.amdhsa_next_free_sgpr 82
		.amdhsa_accum_offset 84
		.amdhsa_reserve_vcc 1
		.amdhsa_float_round_mode_32 0
		.amdhsa_float_round_mode_16_64 0
		.amdhsa_float_denorm_mode_32 3
		.amdhsa_float_denorm_mode_16_64 3
		.amdhsa_dx10_clamp 1
		.amdhsa_ieee_mode 1
		.amdhsa_fp16_overflow 0
		.amdhsa_tg_split 0
		.amdhsa_exception_fp_ieee_invalid_op 0
		.amdhsa_exception_fp_denorm_src 0
		.amdhsa_exception_fp_ieee_div_zero 0
		.amdhsa_exception_fp_ieee_overflow 0
		.amdhsa_exception_fp_ieee_underflow 0
		.amdhsa_exception_fp_ieee_inexact 0
		.amdhsa_exception_int_div_zero 0
	.end_amdhsa_kernel
	.section	.text._Z6kernelI9histogramILN6hipcub23BlockHistogramAlgorithmE0EEiLj512ELj4ELj512ELj100EEvPKT0_PS4_,"axG",@progbits,_Z6kernelI9histogramILN6hipcub23BlockHistogramAlgorithmE0EEiLj512ELj4ELj512ELj100EEvPKT0_PS4_,comdat
.Lfunc_end15:
	.size	_Z6kernelI9histogramILN6hipcub23BlockHistogramAlgorithmE0EEiLj512ELj4ELj512ELj100EEvPKT0_PS4_, .Lfunc_end15-_Z6kernelI9histogramILN6hipcub23BlockHistogramAlgorithmE0EEiLj512ELj4ELj512ELj100EEvPKT0_PS4_
                                        ; -- End function
	.section	.AMDGPU.csdata,"",@progbits
; Kernel info:
; codeLenInByte = 2688
; NumSgprs: 88
; NumVgprs: 83
; NumAgprs: 0
; TotalNumVgprs: 83
; ScratchSize: 0
; MemoryBound: 0
; FloatMode: 240
; IeeeMode: 1
; LDSByteSize: 2048 bytes/workgroup (compile time only)
; SGPRBlocks: 10
; VGPRBlocks: 10
; NumSGPRsForWavesPerEU: 88
; NumVGPRsForWavesPerEU: 83
; AccumOffset: 84
; Occupancy: 5
; WaveLimiterHint : 0
; COMPUTE_PGM_RSRC2:SCRATCH_EN: 0
; COMPUTE_PGM_RSRC2:USER_SGPR: 2
; COMPUTE_PGM_RSRC2:TRAP_HANDLER: 0
; COMPUTE_PGM_RSRC2:TGID_X_EN: 1
; COMPUTE_PGM_RSRC2:TGID_Y_EN: 0
; COMPUTE_PGM_RSRC2:TGID_Z_EN: 0
; COMPUTE_PGM_RSRC2:TIDIG_COMP_CNT: 0
; COMPUTE_PGM_RSRC3_GFX90A:ACCUM_OFFSET: 20
; COMPUTE_PGM_RSRC3_GFX90A:TG_SPLIT: 0
	.section	.text._Z6kernelI9histogramILN6hipcub23BlockHistogramAlgorithmE0EEiLj512ELj8ELj512ELj100EEvPKT0_PS4_,"axG",@progbits,_Z6kernelI9histogramILN6hipcub23BlockHistogramAlgorithmE0EEiLj512ELj8ELj512ELj100EEvPKT0_PS4_,comdat
	.protected	_Z6kernelI9histogramILN6hipcub23BlockHistogramAlgorithmE0EEiLj512ELj8ELj512ELj100EEvPKT0_PS4_ ; -- Begin function _Z6kernelI9histogramILN6hipcub23BlockHistogramAlgorithmE0EEiLj512ELj8ELj512ELj100EEvPKT0_PS4_
	.globl	_Z6kernelI9histogramILN6hipcub23BlockHistogramAlgorithmE0EEiLj512ELj8ELj512ELj100EEvPKT0_PS4_
	.p2align	8
	.type	_Z6kernelI9histogramILN6hipcub23BlockHistogramAlgorithmE0EEiLj512ELj8ELj512ELj100EEvPKT0_PS4_,@function
_Z6kernelI9histogramILN6hipcub23BlockHistogramAlgorithmE0EEiLj512ELj8ELj512ELj100EEvPKT0_PS4_: ; @_Z6kernelI9histogramILN6hipcub23BlockHistogramAlgorithmE0EEiLj512ELj8ELj512ELj100EEvPKT0_PS4_
; %bb.0:
	s_load_dwordx4 s[4:7], s[0:1], 0x0
	v_lshlrev_b32_e32 v1, 3, v0
                                        ; implicit-def: $vgpr209 : SGPR spill to VGPR lane
	v_lshl_or_b32 v6, s2, 12, v1
	v_mov_b32_e32 v7, 0
	v_mov_b32_e32 v20, v7
	s_waitcnt lgkmcnt(0)
	v_mov_b32_e32 v2, s4
	v_writelane_b32 v209, s4, 0
	v_mov_b32_e32 v22, v7
	v_mov_b32_e32 v24, v7
	;; [unrolled: 1-line block ×3, first 2 shown]
	v_lshl_add_u64 v[8:9], v[6:7], 2, v[2:3]
	global_load_dwordx4 v[2:5], v[8:9], off
	global_load_dwordx4 v[16:19], v[8:9], off offset:16
	v_writelane_b32 v209, s5, 1
	v_writelane_b32 v209, s6, 2
	;; [unrolled: 1-line block ×4, first 2 shown]
	v_mov_b32_e32 v26, v7
	v_mov_b32_e32 v28, v7
	;; [unrolled: 1-line block ×61, first 2 shown]
	v_lshlrev_b32_e32 v208, 2, v0
	s_movk_i32 s33, 0x64
	s_waitcnt vmcnt(1)
	v_and_b32_e32 v6, 1, v2
	v_cmp_eq_u32_e64 s[0:1], 1, v6
	v_lshl_add_u64 v[8:9], v[6:7], 0, -1
	v_and_b32_e32 v6, 1, v3
	v_writelane_b32 v209, s0, 5
	v_lshlrev_b32_e32 v21, 30, v2
	v_lshlrev_b32_e32 v23, 29, v2
	v_writelane_b32 v209, s1, 6
	v_cmp_eq_u32_e64 s[0:1], 1, v6
	v_lshlrev_b32_e32 v25, 28, v2
	v_lshlrev_b32_e32 v27, 27, v2
	;; [unrolled: 1-line block ×16, first 2 shown]
	v_lshl_add_u64 v[2:3], v[6:7], 0, -1
	v_writelane_b32 v209, s0, 7
	v_and_b32_e32 v6, 1, v4
	v_lshl_add_u64 v[10:11], v[6:7], 0, -1
	v_writelane_b32 v209, s1, 8
	v_cmp_eq_u32_e64 s[0:1], 1, v6
	v_and_b32_e32 v6, 1, v5
	v_lshlrev_b32_e32 v53, 30, v4
	v_writelane_b32 v209, s0, 9
	v_lshlrev_b32_e32 v55, 29, v4
	v_lshlrev_b32_e32 v57, 28, v4
	v_writelane_b32 v209, s1, 10
	v_cmp_eq_u32_e64 s[0:1], 1, v6
	v_lshlrev_b32_e32 v59, 27, v4
	v_lshlrev_b32_e32 v61, 26, v4
	;; [unrolled: 1-line block ×15, first 2 shown]
	v_writelane_b32 v209, s0, 11
	v_lshl_add_u64 v[4:5], v[6:7], 0, -1
	s_waitcnt vmcnt(0)
	v_and_b32_e32 v6, 1, v16
	v_writelane_b32 v209, s1, 12
	v_cmp_eq_u32_e64 s[0:1], 1, v6
	v_lshl_add_u64 v[12:13], v[6:7], 0, -1
	v_and_b32_e32 v6, 1, v17
	v_writelane_b32 v209, s0, 13
	v_lshl_add_u64 v[14:15], v[6:7], 0, -1
	v_lshlrev_b32_e32 v195, 25, v16
	v_writelane_b32 v209, s1, 14
	v_cmp_eq_u32_e64 s[0:1], 1, v6
	v_and_b32_e32 v6, 1, v18
	v_not_b32_e32 v1, v21
	v_writelane_b32 v209, s0, 15
	v_lshlrev_b32_e32 v206, 2, v18
	v_lshlrev_b32_e32 v189, 24, v16
	v_writelane_b32 v209, s1, 16
	v_cmp_eq_u32_e64 s[0:1], 1, v6
	v_lshlrev_b32_e32 v169, 30, v18
	v_lshlrev_b32_e32 v163, 29, v18
	v_writelane_b32 v209, s0, 17
	v_lshlrev_b32_e32 v153, 28, v18
	v_lshlrev_b32_e32 v151, 27, v18
	v_writelane_b32 v209, s1, 18
	v_cmp_gt_i64_e64 s[0:1], 0, v[20:21]
	v_lshlrev_b32_e32 v149, 26, v18
	v_lshlrev_b32_e32 v147, 25, v18
	v_writelane_b32 v209, s0, 19
	v_lshlrev_b32_e32 v199, 24, v18
	v_lshlrev_b32_e32 v197, 23, v18
	v_writelane_b32 v209, s1, 20
	v_cmp_gt_i64_e64 s[0:1], 0, v[22:23]
	v_ashrrev_i32_e32 v18, 31, v1
	v_not_b32_e32 v1, v195
	v_writelane_b32 v209, s0, 21
	v_lshlrev_b32_e32 v95, 29, v16
	v_lshlrev_b32_e32 v183, 23, v16
	v_writelane_b32 v209, s1, 22
	v_cmp_gt_i64_e64 s[0:1], 0, v[24:25]
	v_ashrrev_i32_e32 v92, 31, v1
	v_not_b32_e32 v1, v189
	v_writelane_b32 v209, s0, 23
	v_lshlrev_b32_e32 v97, 28, v16
	v_lshlrev_b32_e32 v177, 30, v17
	v_writelane_b32 v209, s1, 24
	v_cmp_gt_i64_e64 s[0:1], 0, v[26:27]
	v_cmp_gt_i64_e64 s[82:83], 0, v[94:95]
	v_ashrrev_i32_e32 v94, 31, v1
	v_writelane_b32 v209, s0, 25
	v_not_b32_e32 v1, v183
	v_lshlrev_b32_e32 v99, 27, v16
	v_writelane_b32 v209, s1, 26
	v_cmp_gt_i64_e64 s[0:1], 0, v[28:29]
	v_lshlrev_b32_e32 v171, 29, v17
	v_cmp_gt_i64_e64 s[84:85], 0, v[96:97]
	v_writelane_b32 v209, s0, 27
	v_ashrrev_i32_e32 v96, 31, v1
	v_not_b32_e32 v1, v177
	v_writelane_b32 v209, s1, 28
	v_cmp_gt_i64_e64 s[0:1], 0, v[30:31]
	v_lshlrev_b32_e32 v101, 26, v16
	v_lshlrev_b32_e32 v165, 28, v17
	v_writelane_b32 v209, s0, 29
	v_cmp_gt_i64_e64 s[86:87], 0, v[98:99]
	v_ashrrev_i32_e32 v98, 31, v1
	v_writelane_b32 v209, s1, 30
	v_cmp_gt_i64_e64 s[0:1], 0, v[32:33]
	v_not_b32_e32 v1, v171
	v_lshlrev_b32_e32 v155, 27, v17
	v_writelane_b32 v209, s0, 31
	v_cmp_gt_i64_e64 s[88:89], 0, v[100:101]
	v_ashrrev_i32_e32 v100, 31, v1
	v_writelane_b32 v209, s1, 32
	v_cmp_gt_i64_e64 s[0:1], 0, v[34:35]
	v_not_b32_e32 v1, v165
	v_lshlrev_b32_e32 v193, 26, v17
	v_writelane_b32 v209, s0, 33
	v_ashrrev_i32_e32 v102, 31, v1
	v_not_b32_e32 v1, v155
	v_lshlrev_b32_e32 v187, 25, v17
	v_writelane_b32 v209, s1, 34
	v_cmp_gt_i64_e64 s[0:1], 0, v[36:37]
	v_ashrrev_i32_e32 v104, 31, v1
	v_not_b32_e32 v1, v193
	v_lshlrev_b32_e32 v181, 24, v17
	v_writelane_b32 v209, s0, 35
	v_ashrrev_i32_e32 v106, 31, v1
	v_not_b32_e32 v1, v187
	v_lshlrev_b32_e32 v175, 23, v17
	v_writelane_b32 v209, s1, 36
	v_cmp_gt_i64_e64 s[0:1], 0, v[38:39]
	v_ashrrev_i32_e32 v108, 31, v1
	v_not_b32_e32 v1, v181
	v_writelane_b32 v209, s0, 37
	v_ashrrev_i32_e32 v110, 31, v1
	v_not_b32_e32 v1, v175
	v_writelane_b32 v209, s1, 38
	v_cmp_gt_i64_e64 s[0:1], 0, v[40:41]
	v_ashrrev_i32_e32 v112, 31, v1
	v_not_b32_e32 v1, v169
	v_writelane_b32 v209, s0, 39
	v_ashrrev_i32_e32 v114, 31, v1
	v_not_b32_e32 v1, v163
	;; [unrolled: 7-line block ×4, first 2 shown]
	v_writelane_b32 v209, s1, 44
	v_cmp_gt_i64_e64 s[0:1], 0, v[46:47]
	v_ashrrev_i32_e32 v124, 31, v1
	v_not_b32_e32 v1, v199
	v_lshlrev_b32_e32 v191, 30, v19
	v_writelane_b32 v209, s0, 45
	v_ashrrev_i32_e32 v126, 31, v1
	v_not_b32_e32 v1, v197
	v_lshlrev_b32_e32 v185, 29, v19
	v_writelane_b32 v209, s1, 46
	v_cmp_gt_i64_e64 s[0:1], 0, v[48:49]
	v_ashrrev_i32_e32 v128, 31, v1
	v_not_b32_e32 v1, v191
	v_lshlrev_b32_e32 v179, 28, v19
	v_writelane_b32 v209, s0, 47
	v_ashrrev_i32_e32 v130, 31, v1
	v_not_b32_e32 v1, v185
	v_lshlrev_b32_e32 v173, 27, v19
	;; [unrolled: 9-line block ×4, first 2 shown]
	v_lshlrev_b32_e32 v157, 23, v19
	v_writelane_b32 v209, s1, 52
	v_cmp_gt_i64_e64 s[0:1], 0, v[54:55]
	v_ashrrev_i32_e32 v140, 31, v1
	v_not_b32_e32 v1, v159
	v_lshlrev_b32_e32 v204, 2, v16
	v_lshlrev_b32_e32 v205, 2, v17
	v_lshlrev_b32_e32 v207, 2, v19
	v_lshl_add_u64 v[16:17], v[6:7], 0, -1
	v_and_b32_e32 v6, 1, v19
	v_not_b32_e32 v19, v23
	v_not_b32_e32 v21, v25
	;; [unrolled: 1-line block ×16, first 2 shown]
	v_writelane_b32 v209, s0, 53
	v_not_b32_e32 v51, v55
	v_cmp_gt_i64_e64 s[50:51], 0, v[56:57]
	v_not_b32_e32 v53, v57
	v_cmp_gt_i64_e64 s[52:53], 0, v[58:59]
	;; [unrolled: 2-line block ×15, first 2 shown]
	v_not_b32_e32 v81, v85
	v_not_b32_e32 v83, v95
	;; [unrolled: 1-line block ×5, first 2 shown]
	v_ashrrev_i32_e32 v142, 31, v1
	v_not_b32_e32 v1, v157
	v_writelane_b32 v209, s1, 54
	s_movk_i32 s0, 0x200
	v_ashrrev_i32_e32 v20, 31, v19
	v_ashrrev_i32_e32 v22, 31, v21
	v_ashrrev_i32_e32 v24, 31, v23
	v_ashrrev_i32_e32 v26, 31, v25
	v_ashrrev_i32_e32 v28, 31, v27
	v_ashrrev_i32_e32 v30, 31, v29
	v_ashrrev_i32_e32 v32, 31, v31
	v_ashrrev_i32_e32 v34, 31, v33
	v_ashrrev_i32_e32 v36, 31, v35
	v_ashrrev_i32_e32 v38, 31, v37
	v_ashrrev_i32_e32 v40, 31, v39
	v_ashrrev_i32_e32 v42, 31, v41
	v_ashrrev_i32_e32 v44, 31, v43
	v_ashrrev_i32_e32 v46, 31, v45
	v_ashrrev_i32_e32 v48, 31, v47
	v_ashrrev_i32_e32 v50, 31, v49
	v_ashrrev_i32_e32 v52, 31, v51
	v_ashrrev_i32_e32 v54, 31, v53
	v_ashrrev_i32_e32 v56, 31, v55
	v_ashrrev_i32_e32 v58, 31, v57
	v_ashrrev_i32_e32 v60, 31, v59
	v_ashrrev_i32_e32 v62, 31, v61
	v_ashrrev_i32_e32 v64, 31, v63
	v_ashrrev_i32_e32 v66, 31, v65
	v_ashrrev_i32_e32 v68, 31, v67
	v_ashrrev_i32_e32 v70, 31, v69
	v_ashrrev_i32_e32 v72, 31, v71
	v_ashrrev_i32_e32 v74, 31, v73
	v_ashrrev_i32_e32 v76, 31, v75
	v_ashrrev_i32_e32 v78, 31, v77
	v_ashrrev_i32_e32 v80, 31, v79
	v_ashrrev_i32_e32 v82, 31, v81
	v_ashrrev_i32_e32 v84, 31, v83
	v_ashrrev_i32_e32 v86, 31, v85
	v_ashrrev_i32_e32 v88, 31, v87
	v_ashrrev_i32_e32 v90, 31, v89
	v_ashrrev_i32_e32 v144, 31, v1
	v_cmp_gt_u32_e64 s[80:81], s0, v0
	v_mov_b32_e32 v1, v18
	v_mov_b32_e32 v19, v20
	;; [unrolled: 1-line block ×15, first 2 shown]
	v_cmp_gt_i64_e64 s[90:91], 0, v[194:195]
	v_mov_b32_e32 v47, v48
	v_cmp_gt_i64_e64 s[92:93], 0, v[188:189]
	v_mov_b32_e32 v49, v50
	;; [unrolled: 2-line block ×26, first 2 shown]
	v_cmp_gt_i64_e64 s[44:45], 0, v[156:157]
	v_cmp_eq_u32_e64 s[48:49], 1, v6
	v_mov_b32_e32 v99, v100
	v_mov_b32_e32 v101, v102
	;; [unrolled: 1-line block ×15, first 2 shown]
	v_lshl_add_u64 v[146:147], v[6:7], 0, -1
	v_mov_b32_e32 v129, v130
	v_mov_b32_e32 v131, v132
	;; [unrolled: 1-line block ×8, first 2 shown]
	s_branch .LBB16_2
.LBB16_1:                               ;   in Loop: Header=BB16_2 Depth=1
	s_or_b64 exec, exec, s[2:3]
	s_add_i32 s33, s33, -1
	s_cmp_eq_u32 s33, 0
	s_waitcnt lgkmcnt(0)
	s_barrier
	s_cbranch_scc1 .LBB16_20
.LBB16_2:                               ; =>This Inner Loop Header: Depth=1
	s_and_saveexec_b64 s[2:3], s[80:81]
	s_cbranch_execz .LBB16_4
; %bb.3:                                ;   in Loop: Header=BB16_2 Depth=1
	ds_write_b32 v208, v7
.LBB16_4:                               ;   in Loop: Header=BB16_2 Depth=1
	s_or_b64 exec, exec, s[2:3]
	v_readlane_b32 s2, v209, 5
	v_readlane_b32 s3, v209, 6
	s_waitcnt lgkmcnt(0)
	s_barrier
	v_cndmask_b32_e64 v6, 0, 1, s[2:3]
	v_readlane_b32 s2, v209, 19
	v_readlane_b32 s3, v209, 20
	v_cmp_ne_u32_e32 vcc, 0, v6
	s_nop 0
	v_cndmask_b32_e64 v148, 0, 1, s[2:3]
	v_xor_b32_e32 v6, vcc_hi, v9
	v_xor_b32_e32 v145, vcc_lo, v8
	v_cmp_ne_u32_e32 vcc, 0, v148
	v_readlane_b32 s2, v209, 21
	v_and_b32_e32 v6, exec_hi, v6
	v_xor_b32_e32 v148, vcc_hi, v1
	v_readlane_b32 s3, v209, 22
	v_and_b32_e32 v6, v6, v148
	v_xor_b32_e32 v149, vcc_lo, v18
	v_cndmask_b32_e64 v148, 0, 1, s[2:3]
	v_cmp_ne_u32_e32 vcc, 0, v148
	v_readlane_b32 s2, v209, 23
	v_readlane_b32 s3, v209, 24
	v_xor_b32_e32 v148, vcc_hi, v19
	v_and_b32_e32 v145, exec_lo, v145
	v_and_b32_e32 v6, v6, v148
	v_cndmask_b32_e64 v148, 0, 1, s[2:3]
	v_and_b32_e32 v145, v145, v149
	v_xor_b32_e32 v149, vcc_lo, v20
	v_cmp_ne_u32_e32 vcc, 0, v148
	v_readlane_b32 s2, v209, 25
	v_readlane_b32 s3, v209, 26
	v_xor_b32_e32 v148, vcc_hi, v21
	v_and_b32_e32 v6, v6, v148
	v_cndmask_b32_e64 v148, 0, 1, s[2:3]
	v_and_b32_e32 v145, v145, v149
	v_xor_b32_e32 v149, vcc_lo, v22
	v_cmp_ne_u32_e32 vcc, 0, v148
	v_readlane_b32 s2, v209, 27
	v_readlane_b32 s3, v209, 28
	v_xor_b32_e32 v148, vcc_hi, v23
	;; [unrolled: 8-line block ×4, first 2 shown]
	v_and_b32_e32 v6, v6, v148
	v_cndmask_b32_e64 v148, 0, 1, s[2:3]
	v_and_b32_e32 v145, v145, v149
	v_xor_b32_e32 v149, vcc_lo, v28
	v_cmp_ne_u32_e32 vcc, 0, v148
	v_readlane_b32 s2, v209, 33
	v_and_b32_e32 v145, v145, v149
	v_xor_b32_e32 v148, vcc_hi, v29
	v_xor_b32_e32 v149, vcc_lo, v30
	v_readlane_b32 s3, v209, 34
	v_and_b32_e32 v6, v6, v148
	v_and_b32_e32 v148, v145, v149
	v_cndmask_b32_e64 v145, 0, 1, s[2:3]
	v_cmp_ne_u32_e32 vcc, 0, v145
	s_nop 1
	v_xor_b32_e32 v145, vcc_hi, v31
	v_xor_b32_e32 v149, vcc_lo, v32
	v_and_b32_e32 v145, v6, v145
	v_and_b32_e32 v6, v148, v149
	v_mbcnt_lo_u32_b32 v148, v6, 0
	v_mbcnt_hi_u32_b32 v148, v145, v148
	v_cmp_eq_u32_e32 vcc, 0, v148
	s_and_saveexec_b64 s[2:3], vcc
	s_cbranch_execz .LBB16_6
; %bb.5:                                ;   in Loop: Header=BB16_2 Depth=1
	v_bcnt_u32_b32 v6, v6, 0
	v_bcnt_u32_b32 v6, v145, v6
	ds_add_u32 v200, v6
.LBB16_6:                               ;   in Loop: Header=BB16_2 Depth=1
	s_or_b64 exec, exec, s[2:3]
	v_readlane_b32 s2, v209, 7
	v_readlane_b32 s3, v209, 8
	s_nop 1
	v_cndmask_b32_e64 v6, 0, 1, s[2:3]
	v_readlane_b32 s2, v209, 35
	v_readlane_b32 s3, v209, 36
	v_cmp_ne_u32_e32 vcc, 0, v6
	s_nop 0
	v_cndmask_b32_e64 v148, 0, 1, s[2:3]
	v_xor_b32_e32 v6, vcc_hi, v3
	v_xor_b32_e32 v145, vcc_lo, v2
	v_cmp_ne_u32_e32 vcc, 0, v148
	v_readlane_b32 s2, v209, 37
	v_and_b32_e32 v6, exec_hi, v6
	v_xor_b32_e32 v148, vcc_hi, v33
	v_readlane_b32 s3, v209, 38
	v_and_b32_e32 v6, v6, v148
	v_xor_b32_e32 v149, vcc_lo, v34
	v_cndmask_b32_e64 v148, 0, 1, s[2:3]
	v_cmp_ne_u32_e32 vcc, 0, v148
	v_readlane_b32 s2, v209, 39
	v_readlane_b32 s3, v209, 40
	v_xor_b32_e32 v148, vcc_hi, v35
	v_and_b32_e32 v145, exec_lo, v145
	v_and_b32_e32 v6, v6, v148
	v_cndmask_b32_e64 v148, 0, 1, s[2:3]
	v_and_b32_e32 v145, v145, v149
	v_xor_b32_e32 v149, vcc_lo, v36
	v_cmp_ne_u32_e32 vcc, 0, v148
	v_readlane_b32 s2, v209, 41
	v_readlane_b32 s3, v209, 42
	v_xor_b32_e32 v148, vcc_hi, v37
	v_and_b32_e32 v6, v6, v148
	v_cndmask_b32_e64 v148, 0, 1, s[2:3]
	v_and_b32_e32 v145, v145, v149
	v_xor_b32_e32 v149, vcc_lo, v38
	v_cmp_ne_u32_e32 vcc, 0, v148
	v_readlane_b32 s2, v209, 43
	v_readlane_b32 s3, v209, 44
	v_xor_b32_e32 v148, vcc_hi, v39
	;; [unrolled: 8-line block ×4, first 2 shown]
	v_and_b32_e32 v6, v6, v148
	v_cndmask_b32_e64 v148, 0, 1, s[2:3]
	v_and_b32_e32 v145, v145, v149
	v_xor_b32_e32 v149, vcc_lo, v44
	v_cmp_ne_u32_e32 vcc, 0, v148
	v_readlane_b32 s2, v209, 49
	v_and_b32_e32 v145, v145, v149
	v_xor_b32_e32 v148, vcc_hi, v45
	v_xor_b32_e32 v149, vcc_lo, v46
	v_readlane_b32 s3, v209, 50
	v_and_b32_e32 v6, v6, v148
	v_and_b32_e32 v148, v145, v149
	v_cndmask_b32_e64 v145, 0, 1, s[2:3]
	v_cmp_ne_u32_e32 vcc, 0, v145
	s_nop 1
	v_xor_b32_e32 v145, vcc_hi, v47
	v_xor_b32_e32 v149, vcc_lo, v48
	v_and_b32_e32 v145, v6, v145
	v_and_b32_e32 v6, v148, v149
	v_mbcnt_lo_u32_b32 v148, v6, 0
	v_mbcnt_hi_u32_b32 v148, v145, v148
	v_cmp_eq_u32_e32 vcc, 0, v148
	s_and_saveexec_b64 s[2:3], vcc
	s_cbranch_execz .LBB16_8
; %bb.7:                                ;   in Loop: Header=BB16_2 Depth=1
	v_bcnt_u32_b32 v6, v6, 0
	v_bcnt_u32_b32 v6, v145, v6
	ds_add_u32 v201, v6
.LBB16_8:                               ;   in Loop: Header=BB16_2 Depth=1
	s_or_b64 exec, exec, s[2:3]
	v_readlane_b32 s2, v209, 9
	v_readlane_b32 s3, v209, 10
	s_nop 1
	v_cndmask_b32_e64 v6, 0, 1, s[2:3]
	v_readlane_b32 s2, v209, 51
	v_readlane_b32 s3, v209, 52
	v_cmp_ne_u32_e32 vcc, 0, v6
	s_nop 0
	v_cndmask_b32_e64 v148, 0, 1, s[2:3]
	v_xor_b32_e32 v6, vcc_hi, v11
	v_xor_b32_e32 v145, vcc_lo, v10
	v_cmp_ne_u32_e32 vcc, 0, v148
	v_readlane_b32 s2, v209, 53
	v_and_b32_e32 v6, exec_hi, v6
	v_xor_b32_e32 v148, vcc_hi, v49
	v_readlane_b32 s3, v209, 54
	v_and_b32_e32 v6, v6, v148
	v_xor_b32_e32 v149, vcc_lo, v50
	v_cndmask_b32_e64 v148, 0, 1, s[2:3]
	v_cmp_ne_u32_e32 vcc, 0, v148
	v_and_b32_e32 v145, exec_lo, v145
	v_and_b32_e32 v145, v145, v149
	v_xor_b32_e32 v148, vcc_hi, v51
	v_and_b32_e32 v6, v6, v148
	v_cndmask_b32_e64 v148, 0, 1, s[50:51]
	v_xor_b32_e32 v149, vcc_lo, v52
	v_cmp_ne_u32_e32 vcc, 0, v148
	v_and_b32_e32 v145, v145, v149
	s_nop 0
	v_xor_b32_e32 v148, vcc_hi, v53
	v_and_b32_e32 v6, v6, v148
	v_cndmask_b32_e64 v148, 0, 1, s[52:53]
	v_xor_b32_e32 v149, vcc_lo, v54
	v_cmp_ne_u32_e32 vcc, 0, v148
	v_and_b32_e32 v145, v145, v149
	s_nop 0
	;; [unrolled: 7-line block ×5, first 2 shown]
	v_xor_b32_e32 v148, vcc_hi, v61
	v_xor_b32_e32 v149, vcc_lo, v62
	v_and_b32_e32 v6, v6, v148
	v_and_b32_e32 v148, v145, v149
	v_cndmask_b32_e64 v145, 0, 1, s[60:61]
	v_cmp_ne_u32_e32 vcc, 0, v145
	s_nop 1
	v_xor_b32_e32 v145, vcc_hi, v63
	v_xor_b32_e32 v149, vcc_lo, v64
	v_and_b32_e32 v145, v6, v145
	v_and_b32_e32 v6, v148, v149
	v_mbcnt_lo_u32_b32 v148, v6, 0
	v_mbcnt_hi_u32_b32 v148, v145, v148
	v_cmp_eq_u32_e32 vcc, 0, v148
	s_and_saveexec_b64 s[2:3], vcc
	s_cbranch_execz .LBB16_10
; %bb.9:                                ;   in Loop: Header=BB16_2 Depth=1
	v_bcnt_u32_b32 v6, v6, 0
	v_bcnt_u32_b32 v6, v145, v6
	ds_add_u32 v202, v6
.LBB16_10:                              ;   in Loop: Header=BB16_2 Depth=1
	s_or_b64 exec, exec, s[2:3]
	v_readlane_b32 s2, v209, 11
	v_readlane_b32 s3, v209, 12
	v_cndmask_b32_e64 v148, 0, 1, s[62:63]
	s_nop 0
	v_cndmask_b32_e64 v6, 0, 1, s[2:3]
	v_cmp_ne_u32_e32 vcc, 0, v6
	s_nop 1
	v_xor_b32_e32 v6, vcc_hi, v5
	v_xor_b32_e32 v145, vcc_lo, v4
	v_cmp_ne_u32_e32 vcc, 0, v148
	v_and_b32_e32 v6, exec_hi, v6
	v_and_b32_e32 v145, exec_lo, v145
	v_xor_b32_e32 v148, vcc_hi, v65
	v_and_b32_e32 v6, v6, v148
	v_cndmask_b32_e64 v148, 0, 1, s[64:65]
	v_xor_b32_e32 v149, vcc_lo, v66
	v_cmp_ne_u32_e32 vcc, 0, v148
	v_and_b32_e32 v145, v145, v149
	s_nop 0
	v_xor_b32_e32 v148, vcc_hi, v67
	v_and_b32_e32 v6, v6, v148
	v_cndmask_b32_e64 v148, 0, 1, s[66:67]
	v_xor_b32_e32 v149, vcc_lo, v68
	v_cmp_ne_u32_e32 vcc, 0, v148
	v_and_b32_e32 v145, v145, v149
	s_nop 0
	;; [unrolled: 7-line block ×6, first 2 shown]
	v_xor_b32_e32 v148, vcc_hi, v77
	v_xor_b32_e32 v149, vcc_lo, v78
	v_and_b32_e32 v6, v6, v148
	v_and_b32_e32 v148, v145, v149
	v_cndmask_b32_e64 v145, 0, 1, s[76:77]
	v_cmp_ne_u32_e32 vcc, 0, v145
	s_nop 1
	v_xor_b32_e32 v145, vcc_hi, v79
	v_xor_b32_e32 v149, vcc_lo, v80
	v_and_b32_e32 v145, v6, v145
	v_and_b32_e32 v6, v148, v149
	v_mbcnt_lo_u32_b32 v148, v6, 0
	v_mbcnt_hi_u32_b32 v148, v145, v148
	v_cmp_eq_u32_e32 vcc, 0, v148
	s_and_saveexec_b64 s[2:3], vcc
	s_cbranch_execz .LBB16_12
; %bb.11:                               ;   in Loop: Header=BB16_2 Depth=1
	v_bcnt_u32_b32 v6, v6, 0
	v_bcnt_u32_b32 v6, v145, v6
	ds_add_u32 v203, v6
.LBB16_12:                              ;   in Loop: Header=BB16_2 Depth=1
	s_or_b64 exec, exec, s[2:3]
	v_readlane_b32 s2, v209, 13
	v_readlane_b32 s3, v209, 14
	v_cndmask_b32_e64 v148, 0, 1, s[78:79]
	s_nop 0
	v_cndmask_b32_e64 v6, 0, 1, s[2:3]
	v_cmp_ne_u32_e32 vcc, 0, v6
	s_nop 1
	v_xor_b32_e32 v6, vcc_hi, v13
	v_xor_b32_e32 v145, vcc_lo, v12
	v_cmp_ne_u32_e32 vcc, 0, v148
	v_and_b32_e32 v6, exec_hi, v6
	v_and_b32_e32 v145, exec_lo, v145
	v_xor_b32_e32 v148, vcc_hi, v81
	v_and_b32_e32 v6, v6, v148
	v_cndmask_b32_e64 v148, 0, 1, s[82:83]
	v_xor_b32_e32 v149, vcc_lo, v82
	v_cmp_ne_u32_e32 vcc, 0, v148
	v_and_b32_e32 v145, v145, v149
	s_nop 0
	v_xor_b32_e32 v148, vcc_hi, v83
	v_and_b32_e32 v6, v6, v148
	v_cndmask_b32_e64 v148, 0, 1, s[84:85]
	v_xor_b32_e32 v149, vcc_lo, v84
	v_cmp_ne_u32_e32 vcc, 0, v148
	v_and_b32_e32 v145, v145, v149
	s_nop 0
	;; [unrolled: 7-line block ×6, first 2 shown]
	v_xor_b32_e32 v148, vcc_hi, v93
	v_xor_b32_e32 v149, vcc_lo, v94
	v_and_b32_e32 v6, v6, v148
	v_and_b32_e32 v148, v145, v149
	v_cndmask_b32_e64 v145, 0, 1, s[94:95]
	v_cmp_ne_u32_e32 vcc, 0, v145
	s_nop 1
	v_xor_b32_e32 v145, vcc_hi, v95
	v_xor_b32_e32 v149, vcc_lo, v96
	v_and_b32_e32 v145, v6, v145
	v_and_b32_e32 v6, v148, v149
	v_mbcnt_lo_u32_b32 v148, v6, 0
	v_mbcnt_hi_u32_b32 v148, v145, v148
	v_cmp_eq_u32_e32 vcc, 0, v148
	s_and_saveexec_b64 s[2:3], vcc
	s_cbranch_execz .LBB16_14
; %bb.13:                               ;   in Loop: Header=BB16_2 Depth=1
	v_bcnt_u32_b32 v6, v6, 0
	v_bcnt_u32_b32 v6, v145, v6
	ds_add_u32 v204, v6
.LBB16_14:                              ;   in Loop: Header=BB16_2 Depth=1
	s_or_b64 exec, exec, s[2:3]
	v_readlane_b32 s2, v209, 15
	v_readlane_b32 s3, v209, 16
	v_cndmask_b32_e64 v148, 0, 1, s[96:97]
	s_nop 0
	v_cndmask_b32_e64 v6, 0, 1, s[2:3]
	v_cmp_ne_u32_e32 vcc, 0, v6
	s_nop 1
	v_xor_b32_e32 v6, vcc_hi, v15
	v_xor_b32_e32 v145, vcc_lo, v14
	v_cmp_ne_u32_e32 vcc, 0, v148
	v_and_b32_e32 v6, exec_hi, v6
	v_and_b32_e32 v145, exec_lo, v145
	v_xor_b32_e32 v148, vcc_hi, v97
	v_and_b32_e32 v6, v6, v148
	v_cndmask_b32_e64 v148, 0, 1, s[98:99]
	v_xor_b32_e32 v149, vcc_lo, v98
	v_cmp_ne_u32_e32 vcc, 0, v148
	v_and_b32_e32 v145, v145, v149
	s_nop 0
	v_xor_b32_e32 v148, vcc_hi, v99
	v_and_b32_e32 v6, v6, v148
	v_cndmask_b32_e64 v148, 0, 1, s[0:1]
	v_xor_b32_e32 v149, vcc_lo, v100
	v_cmp_ne_u32_e32 vcc, 0, v148
	v_and_b32_e32 v145, v145, v149
	s_nop 0
	v_xor_b32_e32 v148, vcc_hi, v101
	v_and_b32_e32 v6, v6, v148
	v_cndmask_b32_e64 v148, 0, 1, s[46:47]
	v_xor_b32_e32 v149, vcc_lo, v102
	v_cmp_ne_u32_e32 vcc, 0, v148
	v_and_b32_e32 v145, v145, v149
	s_nop 0
	v_xor_b32_e32 v148, vcc_hi, v103
	v_and_b32_e32 v6, v6, v148
	v_cndmask_b32_e64 v148, 0, 1, s[4:5]
	v_xor_b32_e32 v149, vcc_lo, v104
	v_cmp_ne_u32_e32 vcc, 0, v148
	v_and_b32_e32 v145, v145, v149
	s_nop 0
	v_xor_b32_e32 v148, vcc_hi, v105
	v_and_b32_e32 v6, v6, v148
	v_cndmask_b32_e64 v148, 0, 1, s[6:7]
	v_xor_b32_e32 v149, vcc_lo, v106
	v_cmp_ne_u32_e32 vcc, 0, v148
	v_and_b32_e32 v145, v145, v149
	s_nop 0
	v_xor_b32_e32 v148, vcc_hi, v107
	v_and_b32_e32 v6, v6, v148
	v_cndmask_b32_e64 v148, 0, 1, s[8:9]
	v_xor_b32_e32 v149, vcc_lo, v108
	v_cmp_ne_u32_e32 vcc, 0, v148
	v_and_b32_e32 v145, v145, v149
	s_nop 0
	v_xor_b32_e32 v148, vcc_hi, v109
	v_xor_b32_e32 v149, vcc_lo, v110
	v_and_b32_e32 v6, v6, v148
	v_and_b32_e32 v148, v145, v149
	v_cndmask_b32_e64 v145, 0, 1, s[10:11]
	v_cmp_ne_u32_e32 vcc, 0, v145
	s_nop 1
	v_xor_b32_e32 v145, vcc_hi, v111
	v_xor_b32_e32 v149, vcc_lo, v112
	v_and_b32_e32 v145, v6, v145
	v_and_b32_e32 v6, v148, v149
	v_mbcnt_lo_u32_b32 v148, v6, 0
	v_mbcnt_hi_u32_b32 v148, v145, v148
	v_cmp_eq_u32_e32 vcc, 0, v148
	s_and_saveexec_b64 s[2:3], vcc
	s_cbranch_execz .LBB16_16
; %bb.15:                               ;   in Loop: Header=BB16_2 Depth=1
	v_bcnt_u32_b32 v6, v6, 0
	v_bcnt_u32_b32 v6, v145, v6
	ds_add_u32 v205, v6
.LBB16_16:                              ;   in Loop: Header=BB16_2 Depth=1
	s_or_b64 exec, exec, s[2:3]
	v_readlane_b32 s2, v209, 17
	v_readlane_b32 s3, v209, 18
	v_cndmask_b32_e64 v148, 0, 1, s[12:13]
	s_nop 0
	v_cndmask_b32_e64 v6, 0, 1, s[2:3]
	v_cmp_ne_u32_e32 vcc, 0, v6
	s_nop 1
	v_xor_b32_e32 v6, vcc_hi, v17
	v_xor_b32_e32 v145, vcc_lo, v16
	v_cmp_ne_u32_e32 vcc, 0, v148
	v_and_b32_e32 v6, exec_hi, v6
	v_and_b32_e32 v145, exec_lo, v145
	v_xor_b32_e32 v148, vcc_hi, v113
	v_and_b32_e32 v6, v6, v148
	v_cndmask_b32_e64 v148, 0, 1, s[14:15]
	v_xor_b32_e32 v149, vcc_lo, v114
	v_cmp_ne_u32_e32 vcc, 0, v148
	v_and_b32_e32 v145, v145, v149
	s_nop 0
	v_xor_b32_e32 v148, vcc_hi, v115
	v_and_b32_e32 v6, v6, v148
	v_cndmask_b32_e64 v148, 0, 1, s[16:17]
	v_xor_b32_e32 v149, vcc_lo, v116
	v_cmp_ne_u32_e32 vcc, 0, v148
	v_and_b32_e32 v145, v145, v149
	s_nop 0
	;; [unrolled: 7-line block ×6, first 2 shown]
	v_xor_b32_e32 v148, vcc_hi, v125
	v_xor_b32_e32 v149, vcc_lo, v126
	v_and_b32_e32 v6, v6, v148
	v_and_b32_e32 v148, v145, v149
	v_cndmask_b32_e64 v145, 0, 1, s[26:27]
	v_cmp_ne_u32_e32 vcc, 0, v145
	s_nop 1
	v_xor_b32_e32 v145, vcc_hi, v127
	v_xor_b32_e32 v149, vcc_lo, v128
	v_and_b32_e32 v145, v6, v145
	v_and_b32_e32 v6, v148, v149
	v_mbcnt_lo_u32_b32 v148, v6, 0
	v_mbcnt_hi_u32_b32 v148, v145, v148
	v_cmp_eq_u32_e32 vcc, 0, v148
	s_and_saveexec_b64 s[2:3], vcc
	s_cbranch_execz .LBB16_18
; %bb.17:                               ;   in Loop: Header=BB16_2 Depth=1
	v_bcnt_u32_b32 v6, v6, 0
	v_bcnt_u32_b32 v6, v145, v6
	ds_add_u32 v206, v6
.LBB16_18:                              ;   in Loop: Header=BB16_2 Depth=1
	s_or_b64 exec, exec, s[2:3]
	v_cndmask_b32_e64 v6, 0, 1, s[48:49]
	v_cmp_ne_u32_e32 vcc, 0, v6
	v_cndmask_b32_e64 v148, 0, 1, s[28:29]
	s_nop 0
	v_xor_b32_e32 v6, vcc_hi, v147
	v_xor_b32_e32 v145, vcc_lo, v146
	v_cmp_ne_u32_e32 vcc, 0, v148
	v_and_b32_e32 v6, exec_hi, v6
	v_and_b32_e32 v145, exec_lo, v145
	v_xor_b32_e32 v148, vcc_hi, v129
	v_and_b32_e32 v6, v6, v148
	v_cndmask_b32_e64 v148, 0, 1, s[30:31]
	v_xor_b32_e32 v149, vcc_lo, v130
	v_cmp_ne_u32_e32 vcc, 0, v148
	v_and_b32_e32 v145, v145, v149
	s_nop 0
	v_xor_b32_e32 v148, vcc_hi, v131
	v_and_b32_e32 v6, v6, v148
	v_cndmask_b32_e64 v148, 0, 1, s[34:35]
	v_xor_b32_e32 v149, vcc_lo, v132
	v_cmp_ne_u32_e32 vcc, 0, v148
	v_and_b32_e32 v145, v145, v149
	s_nop 0
	;; [unrolled: 7-line block ×6, first 2 shown]
	v_xor_b32_e32 v148, vcc_hi, v141
	v_xor_b32_e32 v149, vcc_lo, v142
	v_and_b32_e32 v6, v6, v148
	v_and_b32_e32 v148, v145, v149
	v_cndmask_b32_e64 v145, 0, 1, s[44:45]
	v_cmp_ne_u32_e32 vcc, 0, v145
	s_nop 1
	v_xor_b32_e32 v145, vcc_hi, v143
	v_xor_b32_e32 v149, vcc_lo, v144
	v_and_b32_e32 v145, v6, v145
	v_and_b32_e32 v6, v148, v149
	v_mbcnt_lo_u32_b32 v148, v6, 0
	v_mbcnt_hi_u32_b32 v148, v145, v148
	v_cmp_eq_u32_e32 vcc, 0, v148
	s_and_saveexec_b64 s[2:3], vcc
	s_cbranch_execz .LBB16_1
; %bb.19:                               ;   in Loop: Header=BB16_2 Depth=1
	v_bcnt_u32_b32 v6, v6, 0
	v_bcnt_u32_b32 v6, v145, v6
	ds_add_u32 v207, v6
	s_branch .LBB16_1
.LBB16_20:
	s_and_saveexec_b64 s[0:1], s[80:81]
	s_cbranch_execz .LBB16_22
; %bb.21:
	ds_read_b32 v4, v208
	v_readlane_b32 s0, v209, 0
	v_readlane_b32 s2, v209, 2
	;; [unrolled: 1-line block ×4, first 2 shown]
	v_mov_b32_e32 v2, s2
	v_mov_b32_e32 v3, s3
	v_lshl_or_b32 v0, s0, 9, v0
	v_mov_b32_e32 v1, 0
	v_lshl_add_u64 v[0:1], v[0:1], 2, v[2:3]
	v_readlane_b32 s1, v209, 1
	s_waitcnt lgkmcnt(0)
	global_store_dword v[0:1], v4, off
.LBB16_22:
	s_endpgm
	.section	.rodata,"a",@progbits
	.p2align	6, 0x0
	.amdhsa_kernel _Z6kernelI9histogramILN6hipcub23BlockHistogramAlgorithmE0EEiLj512ELj8ELj512ELj100EEvPKT0_PS4_
		.amdhsa_group_segment_fixed_size 2048
		.amdhsa_private_segment_fixed_size 0
		.amdhsa_kernarg_size 16
		.amdhsa_user_sgpr_count 2
		.amdhsa_user_sgpr_dispatch_ptr 0
		.amdhsa_user_sgpr_queue_ptr 0
		.amdhsa_user_sgpr_kernarg_segment_ptr 1
		.amdhsa_user_sgpr_dispatch_id 0
		.amdhsa_user_sgpr_kernarg_preload_length 0
		.amdhsa_user_sgpr_kernarg_preload_offset 0
		.amdhsa_user_sgpr_private_segment_size 0
		.amdhsa_uses_dynamic_stack 0
		.amdhsa_enable_private_segment 0
		.amdhsa_system_sgpr_workgroup_id_x 1
		.amdhsa_system_sgpr_workgroup_id_y 0
		.amdhsa_system_sgpr_workgroup_id_z 0
		.amdhsa_system_sgpr_workgroup_info 0
		.amdhsa_system_vgpr_workitem_id 0
		.amdhsa_next_free_vgpr 210
		.amdhsa_next_free_sgpr 100
		.amdhsa_accum_offset 212
		.amdhsa_reserve_vcc 1
		.amdhsa_float_round_mode_32 0
		.amdhsa_float_round_mode_16_64 0
		.amdhsa_float_denorm_mode_32 3
		.amdhsa_float_denorm_mode_16_64 3
		.amdhsa_dx10_clamp 1
		.amdhsa_ieee_mode 1
		.amdhsa_fp16_overflow 0
		.amdhsa_tg_split 0
		.amdhsa_exception_fp_ieee_invalid_op 0
		.amdhsa_exception_fp_denorm_src 0
		.amdhsa_exception_fp_ieee_div_zero 0
		.amdhsa_exception_fp_ieee_overflow 0
		.amdhsa_exception_fp_ieee_underflow 0
		.amdhsa_exception_fp_ieee_inexact 0
		.amdhsa_exception_int_div_zero 0
	.end_amdhsa_kernel
	.section	.text._Z6kernelI9histogramILN6hipcub23BlockHistogramAlgorithmE0EEiLj512ELj8ELj512ELj100EEvPKT0_PS4_,"axG",@progbits,_Z6kernelI9histogramILN6hipcub23BlockHistogramAlgorithmE0EEiLj512ELj8ELj512ELj100EEvPKT0_PS4_,comdat
.Lfunc_end16:
	.size	_Z6kernelI9histogramILN6hipcub23BlockHistogramAlgorithmE0EEiLj512ELj8ELj512ELj100EEvPKT0_PS4_, .Lfunc_end16-_Z6kernelI9histogramILN6hipcub23BlockHistogramAlgorithmE0EEiLj512ELj8ELj512ELj100EEvPKT0_PS4_
                                        ; -- End function
	.section	.AMDGPU.csdata,"",@progbits
; Kernel info:
; codeLenInByte = 5760
; NumSgprs: 106
; NumVgprs: 210
; NumAgprs: 0
; TotalNumVgprs: 210
; ScratchSize: 0
; MemoryBound: 0
; FloatMode: 240
; IeeeMode: 1
; LDSByteSize: 2048 bytes/workgroup (compile time only)
; SGPRBlocks: 13
; VGPRBlocks: 26
; NumSGPRsForWavesPerEU: 106
; NumVGPRsForWavesPerEU: 210
; AccumOffset: 212
; Occupancy: 2
; WaveLimiterHint : 0
; COMPUTE_PGM_RSRC2:SCRATCH_EN: 0
; COMPUTE_PGM_RSRC2:USER_SGPR: 2
; COMPUTE_PGM_RSRC2:TRAP_HANDLER: 0
; COMPUTE_PGM_RSRC2:TGID_X_EN: 1
; COMPUTE_PGM_RSRC2:TGID_Y_EN: 0
; COMPUTE_PGM_RSRC2:TGID_Z_EN: 0
; COMPUTE_PGM_RSRC2:TIDIG_COMP_CNT: 0
; COMPUTE_PGM_RSRC3_GFX90A:ACCUM_OFFSET: 52
; COMPUTE_PGM_RSRC3_GFX90A:TG_SPLIT: 0
	.section	.text._Z6kernelI9histogramILN6hipcub23BlockHistogramAlgorithmE0EEiLj512ELj16ELj512ELj100EEvPKT0_PS4_,"axG",@progbits,_Z6kernelI9histogramILN6hipcub23BlockHistogramAlgorithmE0EEiLj512ELj16ELj512ELj100EEvPKT0_PS4_,comdat
	.protected	_Z6kernelI9histogramILN6hipcub23BlockHistogramAlgorithmE0EEiLj512ELj16ELj512ELj100EEvPKT0_PS4_ ; -- Begin function _Z6kernelI9histogramILN6hipcub23BlockHistogramAlgorithmE0EEiLj512ELj16ELj512ELj100EEvPKT0_PS4_
	.globl	_Z6kernelI9histogramILN6hipcub23BlockHistogramAlgorithmE0EEiLj512ELj16ELj512ELj100EEvPKT0_PS4_
	.p2align	8
	.type	_Z6kernelI9histogramILN6hipcub23BlockHistogramAlgorithmE0EEiLj512ELj16ELj512ELj100EEvPKT0_PS4_,@function
_Z6kernelI9histogramILN6hipcub23BlockHistogramAlgorithmE0EEiLj512ELj16ELj512ELj100EEvPKT0_PS4_: ; @_Z6kernelI9histogramILN6hipcub23BlockHistogramAlgorithmE0EEiLj512ELj16ELj512ELj100EEvPKT0_PS4_
; %bb.0:
	s_load_dwordx4 s[4:7], s[0:1], 0x0
	v_lshlrev_b32_e32 v2, 4, v0
                                        ; implicit-def: $vgpr252 : SGPR spill to VGPR lane
	scratch_store_dword off, v0, off offset:348 ; 4-byte Folded Spill
	v_lshl_or_b32 v18, s2, 13, v2
	v_mov_b32_e32 v19, 0
	s_waitcnt lgkmcnt(0)
	v_mov_b32_e32 v0, s4
	v_writelane_b32 v252, s4, 0
	v_mov_b32_e32 v22, v19
	v_mov_b32_e32 v24, v19
	;; [unrolled: 1-line block ×3, first 2 shown]
	v_lshl_add_u64 v[20:21], v[18:19], 2, v[0:1]
	global_load_dwordx4 v[2:5], v[20:21], off
	global_load_dwordx4 v[6:9], v[20:21], off offset:16
	global_load_dwordx4 v[14:17], v[20:21], off offset:32
	;; [unrolled: 1-line block ×3, first 2 shown]
	v_writelane_b32 v252, s5, 1
	v_writelane_b32 v252, s6, 2
	;; [unrolled: 1-line block ×4, first 2 shown]
	v_mov_b32_e32 v20, v19
	v_mov_b32_e32 v26, v19
	v_mov_b32_e32 v28, v19
	v_mov_b32_e32 v38, v19
	v_mov_b32_e32 v40, v19
	v_mov_b32_e32 v42, v19
	v_mov_b32_e32 v44, v19
	v_mov_b32_e32 v250, v19
	v_mov_b32_e32 v246, v19
	v_mov_b32_e32 v242, v19
	v_mov_b32_e32 v238, v19
	v_mov_b32_e32 v236, v19
                                        ; implicit-def: $vgpr253 : SGPR spill to VGPR lane
	v_mov_b32_e32 v234, v19
	v_mov_b32_e32 v230, v19
	;; [unrolled: 1-line block ×32, first 2 shown]
                                        ; implicit-def: $vgpr254 : SGPR spill to VGPR lane
	v_mov_b32_e32 v110, v19
	v_mov_b32_e32 v106, v19
	;; [unrolled: 1-line block ×28, first 2 shown]
	s_waitcnt vmcnt(3)
	v_and_b32_e32 v18, 1, v2
	v_cmp_eq_u32_e64 s[0:1], 1, v18
	v_lshl_add_u64 v[30:31], v[18:19], 0, -1
	v_and_b32_e32 v18, 1, v3
	v_writelane_b32 v252, s0, 5
	v_lshlrev_b32_e32 v0, 2, v2
	v_lshlrev_b32_e32 v1, 30, v2
	v_writelane_b32 v252, s1, 6
	v_cmp_eq_u32_e64 s[0:1], 1, v18
	v_lshlrev_b32_e32 v21, 29, v2
	v_lshlrev_b32_e32 v23, 28, v2
	;; [unrolled: 1-line block ×7, first 2 shown]
	scratch_store_dword off, v0, off offset:364 ; 4-byte Folded Spill
	v_lshlrev_b32_e32 v43, 30, v3
	v_lshlrev_b32_e32 v45, 29, v3
	;; [unrolled: 1-line block ×9, first 2 shown]
	v_lshl_add_u64 v[2:3], v[18:19], 0, -1
	v_writelane_b32 v252, s0, 7
	v_and_b32_e32 v18, 1, v4
	scratch_store_dwordx2 off, v[2:3], off offset:120 ; 8-byte Folded Spill
	v_writelane_b32 v252, s1, 8
	v_cmp_eq_u32_e64 s[0:1], 1, v18
	v_lshl_add_u64 v[2:3], v[18:19], 0, -1
	v_and_b32_e32 v18, 1, v5
	v_writelane_b32 v252, s0, 9
	scratch_store_dwordx2 off, v[2:3], off offset:128 ; 8-byte Folded Spill
	v_lshl_add_u64 v[2:3], v[18:19], 0, -1
	v_writelane_b32 v252, s1, 10
	v_cmp_eq_u32_e64 s[0:1], 1, v18
	s_waitcnt vmcnt(5)
	v_and_b32_e32 v18, 1, v6
	scratch_store_dwordx2 off, v[2:3], off offset:136 ; 8-byte Folded Spill
	v_writelane_b32 v252, s0, 11
	v_lshl_add_u64 v[2:3], v[18:19], 0, -1
	scratch_store_dwordx2 off, v[2:3], off offset:144 ; 8-byte Folded Spill
	v_writelane_b32 v252, s1, 12
	v_cmp_eq_u32_e64 s[0:1], 1, v18
	v_and_b32_e32 v18, 1, v7
	v_lshl_add_u64 v[2:3], v[18:19], 0, -1
	v_writelane_b32 v252, s0, 13
	scratch_store_dwordx2 off, v[2:3], off offset:152 ; 8-byte Folded Spill
	scratch_store_dword off, v0, off offset:352 ; 4-byte Folded Spill
	v_writelane_b32 v252, s1, 14
	v_cmp_eq_u32_e64 s[0:1], 1, v18
	v_and_b32_e32 v18, 1, v8
	v_lshl_add_u64 v[2:3], v[18:19], 0, -1
	v_writelane_b32 v252, s0, 15
	scratch_store_dwordx2 off, v[2:3], off offset:160 ; 8-byte Folded Spill
	v_lshlrev_b32_e32 v0, 2, v4
	v_writelane_b32 v252, s1, 16
	v_cmp_eq_u32_e64 s[0:1], 1, v18
	v_and_b32_e32 v18, 1, v9
	v_lshl_add_u64 v[2:3], v[18:19], 0, -1
	v_writelane_b32 v252, s0, 17
	scratch_store_dwordx2 off, v[2:3], off offset:168 ; 8-byte Folded Spill
	scratch_store_dword off, v0, off offset:356 ; 4-byte Folded Spill
	v_writelane_b32 v252, s1, 18
	v_cmp_eq_u32_e64 s[0:1], 1, v18
	s_waitcnt vmcnt(11)
	v_and_b32_e32 v18, 1, v14
	v_lshl_add_u64 v[2:3], v[18:19], 0, -1
	v_writelane_b32 v252, s0, 19
	v_lshlrev_b32_e32 v0, 2, v5
	scratch_store_dwordx2 off, v[2:3], off offset:176 ; 8-byte Folded Spill
	v_writelane_b32 v252, s1, 20
	v_cmp_eq_u32_e64 s[0:1], 1, v18
	v_and_b32_e32 v18, 1, v15
	v_lshl_add_u64 v[2:3], v[18:19], 0, -1
	v_writelane_b32 v252, s0, 21
	scratch_store_dword off, v0, off offset:360 ; 4-byte Folded Spill
	v_lshlrev_b32_e32 v0, 2, v6
	v_writelane_b32 v252, s1, 22
	v_cmp_eq_u32_e64 s[0:1], 1, v18
	v_and_b32_e32 v18, 1, v16
	scratch_store_dwordx2 off, v[2:3], off offset:184 ; 8-byte Folded Spill
	v_lshl_add_u64 v[2:3], v[18:19], 0, -1
	scratch_store_dword off, v0, off offset:344 ; 4-byte Folded Spill
	v_lshlrev_b32_e32 v0, 2, v7
	scratch_store_dwordx2 off, v[2:3], off offset:200 ; 8-byte Folded Spill
	v_lshlrev_b32_e32 v3, 30, v17
	scratch_store_dword off, v0, off offset:300 ; 4-byte Folded Spill
	v_lshlrev_b32_e32 v0, 2, v8
	v_writelane_b32 v252, s0, 23
	scratch_store_dwordx2 off, v[2:3], off offset:56 ; 8-byte Folded Spill
	v_lshlrev_b32_e32 v3, 29, v17
	scratch_store_dword off, v0, off offset:304 ; 4-byte Folded Spill
	v_lshlrev_b32_e32 v0, 2, v9
	v_writelane_b32 v252, s1, 24
	v_cmp_eq_u32_e64 s[0:1], 1, v18
	scratch_store_dwordx2 off, v[2:3], off offset:48 ; 8-byte Folded Spill
	v_lshlrev_b32_e32 v3, 28, v17
	scratch_store_dword off, v0, off offset:308 ; 4-byte Folded Spill
	v_writelane_b32 v252, s0, 25
	v_and_b32_e32 v18, 1, v17
	v_lshlrev_b32_e32 v0, 2, v14
	scratch_store_dwordx2 off, v[2:3], off offset:40 ; 8-byte Folded Spill
	v_lshlrev_b32_e32 v3, 27, v17
	v_writelane_b32 v252, s1, 26
	scratch_store_dword off, v0, off offset:312 ; 4-byte Folded Spill
	v_lshlrev_b32_e32 v0, 2, v15
	scratch_store_dwordx2 off, v[2:3], off offset:32 ; 8-byte Folded Spill
	v_lshlrev_b32_e32 v3, 26, v17
	v_cmp_eq_u32_e64 s[0:1], 1, v18
	scratch_store_dword off, v0, off offset:316 ; 4-byte Folded Spill
	v_lshlrev_b32_e32 v0, 2, v16
	v_lshlrev_b32_e32 v89, 30, v14
	;; [unrolled: 1-line block ×17, first 2 shown]
	scratch_store_dwordx2 off, v[2:3], off offset:24 ; 8-byte Folded Spill
	v_lshlrev_b32_e32 v3, 25, v17
	v_writelane_b32 v252, s0, 27
	v_lshl_add_u64 v[14:15], v[18:19], 0, -1
	s_waitcnt vmcnt(25)
	v_and_b32_e32 v18, 1, v10
	scratch_store_dword off, v0, off offset:320 ; 4-byte Folded Spill
	v_lshlrev_b32_e32 v0, 2, v17
	scratch_store_dwordx2 off, v[2:3], off offset:16 ; 8-byte Folded Spill
	v_lshlrev_b32_e32 v3, 24, v17
	v_writelane_b32 v252, s1, 28
	v_cmp_eq_u32_e64 s[0:1], 1, v18
	v_lshlrev_b32_e32 v209, 30, v5
	v_lshlrev_b32_e32 v205, 29, v5
	;; [unrolled: 1-line block ×16, first 2 shown]
	scratch_store_dwordx2 off, v[30:31], off offset:112 ; 8-byte Folded Spill
	v_lshlrev_b32_e32 v103, 30, v9
	v_lshlrev_b32_e32 v97, 29, v9
	;; [unrolled: 1-line block ×8, first 2 shown]
	scratch_store_dword off, v0, off offset:324 ; 4-byte Folded Spill
	v_lshlrev_b32_e32 v51, 30, v16
	v_lshlrev_b32_e32 v49, 29, v16
	;; [unrolled: 1-line block ×8, first 2 shown]
	scratch_store_dwordx2 off, v[2:3], off offset:8 ; 8-byte Folded Spill
	v_lshlrev_b32_e32 v3, 23, v17
	v_writelane_b32 v252, s0, 29
	v_lshl_add_u64 v[16:17], v[18:19], 0, -1
	v_and_b32_e32 v18, 1, v11
	v_lshlrev_b32_e32 v0, 2, v10
	v_writelane_b32 v252, s1, 30
	v_cmp_eq_u32_e64 s[0:1], 1, v18
	scratch_store_dword off, v0, off offset:328 ; 4-byte Folded Spill
	v_lshlrev_b32_e32 v0, 2, v11
	v_writelane_b32 v252, s0, 31
	v_lshl_add_u64 v[34:35], v[18:19], 0, -1
	v_and_b32_e32 v18, 1, v12
	scratch_store_dword off, v0, off offset:332 ; 4-byte Folded Spill
	v_lshlrev_b32_e32 v0, 2, v12
	v_writelane_b32 v252, s1, 32
	v_cmp_eq_u32_e64 s[0:1], 1, v18
	scratch_store_dword off, v0, off offset:336 ; 4-byte Folded Spill
	v_lshlrev_b32_e32 v0, 2, v13
	v_writelane_b32 v252, s0, 33
	scratch_store_dword off, v0, off offset:340 ; 4-byte Folded Spill
	v_mov_b32_e32 v0, v19
	v_writelane_b32 v252, s1, 34
	v_cmp_gt_i64_e64 s[0:1], 0, v[0:1]
	v_lshlrev_b32_e32 v231, 30, v4
	v_lshlrev_b32_e32 v229, 29, v4
	v_writelane_b32 v252, s0, 35
	v_lshlrev_b32_e32 v227, 28, v4
	v_lshlrev_b32_e32 v223, 27, v4
	v_writelane_b32 v252, s1, 36
	v_cmp_gt_i64_e64 s[0:1], 0, v[20:21]
	v_lshlrev_b32_e32 v219, 26, v4
	v_lshlrev_b32_e32 v217, 25, v4
	v_writelane_b32 v252, s0, 37
	v_lshlrev_b32_e32 v215, 24, v4
	v_lshlrev_b32_e32 v211, 23, v4
	;; [unrolled: 7-line block ×6, first 2 shown]
	v_writelane_b32 v252, s1, 46
	v_cmp_gt_i64_e64 s[0:1], 0, v[38:39]
	scratch_store_dwordx2 off, v[2:3], off  ; 8-byte Folded Spill
	v_not_b32_e32 v136, v21
	v_writelane_b32 v252, s0, 47
	v_not_b32_e32 v148, v41
	v_not_b32_e32 v21, v109
	v_writelane_b32 v252, s1, 48
	v_cmp_gt_i64_e64 s[0:1], 0, v[40:41]
	v_not_b32_e32 v41, v107
	v_not_b32_e32 v0, v95
	v_writelane_b32 v252, s0, 49
	v_mov_b32_e32 v60, v19
	v_mov_b32_e32 v58, v19
	v_writelane_b32 v252, s1, 50
	v_cmp_gt_i64_e64 s[0:1], 0, v[42:43]
	v_not_b32_e32 v42, v111
	v_mov_b32_e32 v56, v19
	v_writelane_b32 v252, s0, 51
	v_not_b32_e32 v144, v29
	v_not_b32_e32 v174, v231
	v_writelane_b32 v252, s1, 52
	v_cmp_gt_i64_e64 s[0:1], 0, v[44:45]
	v_mov_b32_e32 v54, v19
	v_lshlrev_b32_e32 v145, 25, v12
	v_writelane_b32 v252, s0, 53
	v_lshlrev_b32_e32 v175, 24, v13
	v_not_b32_e32 v146, v39
	v_writelane_b32 v252, s1, 54
	v_cmp_gt_i64_e64 s[0:1], 0, v[250:251]
	v_mov_b32_e32 v30, v19
	v_lshl_add_u64 v[36:37], v[18:19], 0, -1
	v_writelane_b32 v252, s0, 55
	v_and_b32_e32 v18, 1, v13
	v_lshlrev_b32_e32 v207, 30, v11
	v_writelane_b32 v252, s1, 56
	v_cmp_gt_i64_e64 s[0:1], 0, v[246:247]
	v_lshlrev_b32_e32 v201, 29, v11
	v_lshlrev_b32_e32 v195, 28, v11
	v_writelane_b32 v252, s0, 57
	v_lshlrev_b32_e32 v189, 27, v11
	v_lshlrev_b32_e32 v183, 26, v11
	v_writelane_b32 v252, s1, 58
	v_cmp_gt_i64_e64 s[0:1], 0, v[242:243]
	v_lshlrev_b32_e32 v179, 25, v11
	v_lshlrev_b32_e32 v169, 24, v11
	v_writelane_b32 v252, s0, 59
	v_lshlrev_b32_e32 v157, 23, v11
	;; [unrolled: 7-line block ×4, first 2 shown]
	v_not_b32_e32 v134, v1
	v_writelane_b32 v253, s1, 0
	v_cmp_gt_i64_e64 s[0:1], 0, v[234:235]
	v_not_b32_e32 v13, v103
	v_cmp_gt_i64_e64 s[4:5], 0, v[30:31]
	v_writelane_b32 v253, s0, 1
	v_mov_b32_e32 v8, v19
	scratch_load_dword v28, off, off offset:348 ; 4-byte Folded Reload
	v_writelane_b32 v253, s1, 2
	v_cmp_gt_i64_e64 s[0:1], 0, v[230:231]
	v_not_b32_e32 v20, v97
	v_cmp_gt_i64_e64 s[92:93], 0, v[8:9]
	v_writelane_b32 v253, s0, 3
	v_not_b32_e32 v138, v23
	v_lshlrev_b32_e32 v135, 30, v12
	v_writelane_b32 v253, s1, 4
	v_cmp_gt_i64_e64 s[0:1], 0, v[228:229]
	v_not_b32_e32 v140, v25
	v_not_b32_e32 v150, v43
	v_writelane_b32 v253, s0, 5
	v_not_b32_e32 v166, v239
	v_not_b32_e32 v44, v113
	v_writelane_b32 v253, s1, 6
	v_cmp_gt_i64_e64 s[0:1], 0, v[226:227]
	v_not_b32_e32 v38, v101
	v_not_b32_e32 v26, v79
	v_writelane_b32 v253, s0, 7
	v_lshlrev_b32_e32 v141, 27, v12
	v_not_b32_e32 v39, v105
	v_writelane_b32 v253, s1, 8
	v_cmp_gt_i64_e64 s[0:1], 0, v[222:223]
	v_not_b32_e32 v24, v119
	v_not_b32_e32 v1, v93
	v_writelane_b32 v253, s0, 9
	s_movk_i32 s2, 0x200
	v_not_b32_e32 v142, v27
	v_writelane_b32 v253, s1, 10
	v_cmp_gt_i64_e64 s[0:1], 0, v[218:219]
	v_not_b32_e32 v27, v99
	v_not_b32_e32 v23, v83
	v_writelane_b32 v253, s0, 11
	v_mov_b32_e32 v52, v19
                                        ; implicit-def: $vgpr255 : SGPR spill to VGPR lane
	v_mov_b32_e32 v50, v19
	v_writelane_b32 v253, s1, 12
	v_cmp_gt_i64_e64 s[0:1], 0, v[216:217]
	v_mov_b32_e32 v48, v19
	v_lshlrev_b32_e32 v139, 28, v12
	v_writelane_b32 v253, s0, 13
	v_not_b32_e32 v156, v251
	v_not_b32_e32 v158, v247
	v_writelane_b32 v253, s1, 14
	v_cmp_gt_i64_e64 s[0:1], 0, v[214:215]
	v_not_b32_e32 v162, v243
	v_not_b32_e32 v170, v235
	v_writelane_b32 v253, s0, 15
	v_not_b32_e32 v214, v215
	v_not_b32_e32 v25, v123
	v_writelane_b32 v253, s1, 16
	v_cmp_gt_i64_e64 s[0:1], 0, v[210:211]
	v_mov_b32_e32 v6, v19
	v_lshlrev_b32_e32 v3, 30, v10
	v_writelane_b32 v253, s0, 17
	v_lshlrev_b32_e32 v245, 28, v10
	v_lshlrev_b32_e32 v241, 27, v10
	v_writelane_b32 v253, s1, 18
	v_cmp_gt_i64_e64 s[0:1], 0, v[208:209]
	v_lshlrev_b32_e32 v225, 25, v10
	v_not_b32_e32 v210, v211
	v_writelane_b32 v253, s0, 19
	v_not_b32_e32 v208, v209
	v_mov_b32_e32 v32, v19
	v_writelane_b32 v253, s1, 20
	v_cmp_gt_i64_e64 s[0:1], 0, v[204:205]
	v_mov_b32_e32 v206, v19
	v_lshlrev_b32_e32 v233, 26, v10
	v_writelane_b32 v253, s0, 21
	v_not_b32_e32 v226, v227
	v_not_b32_e32 v204, v205
	v_writelane_b32 v253, s1, 22
	v_cmp_gt_i64_e64 s[0:1], 0, v[202:203]
	v_not_b32_e32 v202, v203
	v_not_b32_e32 v40, v85
	v_writelane_b32 v253, s0, 23
	v_mov_b32_e32 v232, v19
	v_cmp_gt_i64_e64 s[6:7], 0, v[32:33]
	v_writelane_b32 v253, s1, 24
	v_cmp_gt_i64_e64 s[0:1], 0, v[198:199]
	v_not_b32_e32 v32, v225
	v_cmp_gt_i64_e64 s[42:43], 0, v[206:207]
	v_writelane_b32 v253, s0, 25
	v_cmp_gt_i64_e64 s[34:35], 0, v[232:233]
	v_ashrrev_i32_e32 v236, 31, v32
	v_writelane_b32 v253, s1, 26
	v_cmp_gt_i64_e64 s[0:1], 0, v[196:197]
	v_lshlrev_b32_e32 v137, 29, v12
	v_not_b32_e32 v168, v237
	v_writelane_b32 v253, s0, 27
	v_lshlrev_b32_e32 v249, 29, v10
	v_lshlrev_b32_e32 v213, 23, v10
	v_writelane_b32 v253, s1, 28
	v_cmp_gt_i64_e64 s[0:1], 0, v[192:193]
	v_mov_b32_e32 v46, v19
	v_not_b32_e32 v154, v45
	v_writelane_b32 v253, s0, 29
	v_not_b32_e32 v29, v89
	v_not_b32_e32 v45, v81
	v_writelane_b32 v253, s1, 30
	v_cmp_gt_i64_e64 s[0:1], 0, v[190:191]
	v_mov_b32_e32 v240, v19
	v_mov_b32_e32 v212, v19
	v_writelane_b32 v253, s0, 31
	v_mov_b32_e32 v182, v19
	v_cmp_gt_i64_e64 s[96:97], 0, v[46:47]
	v_writelane_b32 v253, s1, 32
	v_cmp_gt_i64_e64 s[0:1], 0, v[186:187]
	v_cmp_gt_i64_e64 s[30:31], 0, v[240:241]
	;; [unrolled: 1-line block ×3, first 2 shown]
	v_writelane_b32 v253, s0, 33
	v_cmp_gt_i64_e64 s[50:51], 0, v[182:183]
	v_not_b32_e32 v22, v87
	v_writelane_b32 v253, s1, 34
	v_cmp_gt_i64_e64 s[0:1], 0, v[184:185]
	v_lshlrev_b32_e32 v221, 24, v10
	v_lshlrev_b32_e32 v143, 26, v12
	v_writelane_b32 v253, s0, 35
	v_lshlrev_b32_e32 v149, 23, v12
	v_not_b32_e32 v196, v197
	v_writelane_b32 v253, s1, 36
	v_cmp_gt_i64_e64 s[0:1], 0, v[180:181]
	v_not_b32_e32 v180, v181
	v_not_b32_e32 v12, v91
	v_writelane_b32 v253, s0, 37
	v_mov_b32_e32 v248, v19
	v_mov_b32_e32 v194, v19
	v_writelane_b32 v253, s1, 38
	v_cmp_gt_i64_e64 s[0:1], 0, v[176:177]
	v_cmp_gt_i64_e64 s[26:27], 0, v[248:249]
	;; [unrolled: 1-line block ×3, first 2 shown]
	v_writelane_b32 v253, s0, 39
	v_not_b32_e32 v222, v223
	v_not_b32_e32 v218, v219
	v_writelane_b32 v253, s1, 40
	v_cmp_gt_i64_e64 s[0:1], 0, v[172:173]
	v_not_b32_e32 v172, v173
	v_not_b32_e32 v216, v217
	v_writelane_b32 v253, s0, 41
	v_not_b32_e32 v190, v191
	v_not_b32_e32 v186, v187
	v_writelane_b32 v253, s1, 42
	v_cmp_gt_i64_e64 s[0:1], 0, v[164:165]
	v_not_b32_e32 v164, v165
	v_mov_b32_e32 v188, v19
	v_writelane_b32 v253, s0, 43
	v_cmp_gt_i64_e64 s[48:49], 0, v[188:189]
	v_not_b32_e32 v178, v229
	v_writelane_b32 v253, s1, 44
	v_cmp_gt_i64_e64 s[0:1], 0, v[160:161]
	v_not_b32_e32 v43, v117
	v_not_b32_e32 v10, v115
	v_writelane_b32 v253, s0, 45
	v_mov_b32_e32 v4, v19
	v_mov_b32_e32 v2, v19
	v_writelane_b32 v253, s1, 46
	v_cmp_gt_i64_e64 s[0:1], 0, v[152:153]
	v_not_b32_e32 v152, v153
	v_not_b32_e32 v198, v199
	v_writelane_b32 v253, s0, 47
	v_not_b32_e32 v192, v193
	v_not_b32_e32 v184, v185
	v_writelane_b32 v253, s1, 48
	v_cmp_gt_i64_e64 s[0:1], 0, v[132:133]
	v_not_b32_e32 v132, v133
	v_not_b32_e32 v176, v177
	v_writelane_b32 v253, s0, 49
	v_not_b32_e32 v160, v161
	v_mov_b32_e32 v244, v19
	v_writelane_b32 v253, s1, 50
	v_cmp_gt_i64_e64 s[0:1], 0, v[130:131]
	v_not_b32_e32 v130, v131
	v_mov_b32_e32 v224, v19
	v_writelane_b32 v253, s0, 51
	v_mov_b32_e32 v220, v19
	v_mov_b32_e32 v200, v19
	v_writelane_b32 v253, s1, 52
	v_cmp_gt_i64_e64 s[0:1], 0, v[128:129]
	v_not_b32_e32 v128, v129
	v_cmp_gt_i64_e64 s[98:99], 0, v[4:5]
	v_writelane_b32 v253, s0, 53
	v_cmp_gt_i64_e64 s[24:25], 0, v[2:3]
	v_not_b32_e32 v2, v207
	v_writelane_b32 v253, s1, 54
	v_cmp_gt_i64_e64 s[0:1], 0, v[126:127]
	v_not_b32_e32 v126, v127
	v_cmp_gt_i64_e64 s[28:29], 0, v[244:245]
	v_writelane_b32 v253, s0, 55
	v_cmp_gt_i64_e64 s[36:37], 0, v[224:225]
	v_cmp_gt_i64_e64 s[38:39], 0, v[220:221]
	v_writelane_b32 v253, s1, 56
	v_cmp_gt_i64_e64 s[0:1], 0, v[124:125]
	v_not_b32_e32 v124, v125
	v_cmp_gt_i64_e64 s[44:45], 0, v[200:201]
	v_writelane_b32 v253, s0, 57
	v_ashrrev_i32_e32 v242, 31, v2
	s_movk_i32 s33, 0x64
	v_writelane_b32 v253, s1, 58
	v_cmp_gt_i64_e64 s[0:1], 0, v[120:121]
	v_not_b32_e32 v121, v121
	v_ashrrev_i32_e32 v120, 31, v124
	v_writelane_b32 v253, s0, 59
	v_ashrrev_i32_e32 v124, 31, v43
	v_not_b32_e32 v43, v143
	v_writelane_b32 v253, s1, 60
	v_cmp_gt_i64_e64 s[0:1], 0, v[116:117]
	v_ashrrev_i32_e32 v116, 31, v128
	v_ashrrev_i32_e32 v128, 31, v42
	v_writelane_b32 v253, s0, 61
	v_not_b32_e32 v42, v147
	v_cmp_eq_u32_e64 s[90:91], 1, v18
	v_writelane_b32 v253, s1, 62
	v_cmp_gt_i64_e64 s[0:1], 0, v[112:113]
	v_ashrrev_i32_e32 v112, 31, v132
	v_ashrrev_i32_e32 v132, 31, v39
	v_writelane_b32 v253, s0, 63
	v_not_b32_e32 v39, v151
	v_mov_b32_e32 v113, v112
	v_writelane_b32 v254, s1, 0
	v_cmp_gt_i64_e64 s[0:1], 0, v[110:111]
	scratch_load_dwordx2 v[110:111], off, off offset:8 ; 8-byte Folded Reload
	v_mov_b32_e32 v117, v116
	v_writelane_b32 v254, s0, 1
	v_mov_b32_e32 v125, v124
	v_mov_b32_e32 v129, v128
	v_writelane_b32 v254, s1, 2
	v_cmp_gt_i64_e64 s[0:1], 0, v[106:107]
	scratch_load_dwordx2 v[106:107], off, off offset:56 ; 8-byte Folded Reload
	v_mov_b32_e32 v133, v132
	v_writelane_b32 v254, s0, 3
	v_mov_b32_e32 v237, v236
	v_mov_b32_e32 v243, v242
	v_writelane_b32 v254, s1, 4
	v_cmp_gt_i64_e64 s[0:1], 0, v[104:105]
	scratch_load_dwordx2 v[104:105], off, off offset:48 ; 8-byte Folded Reload
	s_nop 0
	v_writelane_b32 v254, s0, 5
	s_nop 1
	v_writelane_b32 v254, s1, 6
	v_cmp_gt_i64_e64 s[0:1], 0, v[100:101]
	scratch_load_dwordx2 v[100:101], off, off offset:32 ; 8-byte Folded Reload
	s_nop 0
	v_writelane_b32 v254, s0, 7
	s_nop 1
	v_writelane_b32 v254, s1, 8
	v_cmp_gt_i64_e64 s[0:1], 0, v[98:99]
	s_nop 1
	v_writelane_b32 v254, s0, 9
	s_nop 1
	v_writelane_b32 v254, s1, 10
	v_cmp_gt_i64_e64 s[0:1], 0, v[122:123]
	v_ashrrev_i32_e32 v122, 31, v121
	v_mov_b32_e32 v121, v120
	v_writelane_b32 v254, s0, 11
	v_mov_b32_e32 v123, v122
	s_nop 0
	v_writelane_b32 v254, s1, 12
	v_cmp_gt_i64_e64 s[0:1], 0, v[118:119]
	v_ashrrev_i32_e32 v118, 31, v126
	v_ashrrev_i32_e32 v126, 31, v44
	v_writelane_b32 v254, s0, 13
	v_not_b32_e32 v44, v145
	v_mov_b32_e32 v119, v118
	v_writelane_b32 v254, s1, 14
	v_cmp_gt_i64_e64 s[0:1], 0, v[114:115]
	v_ashrrev_i32_e32 v114, 31, v130
	v_ashrrev_i32_e32 v130, 31, v41
	v_writelane_b32 v254, s0, 15
	v_not_b32_e32 v41, v149
	v_mov_b32_e32 v115, v114
	v_writelane_b32 v254, s1, 16
	v_cmp_gt_i64_e64 s[0:1], 0, v[108:109]
	scratch_load_dwordx2 v[108:109], off, off ; 8-byte Folded Reload
	s_waitcnt vmcnt(0)
	v_mov_b32_e32 v108, v19
	v_writelane_b32 v254, s0, 17
	v_mov_b32_e32 v110, v19
	v_mov_b32_e32 v127, v126
	v_writelane_b32 v254, s1, 18
	v_cmp_gt_i64_e64 s[0:1], 0, v[102:103]
	scratch_load_dwordx2 v[102:103], off, off offset:40 ; 8-byte Folded Reload
	v_mov_b32_e32 v131, v130
	v_writelane_b32 v254, s0, 19
	v_mov_b64_e32 v[98:99], v[110:111]
	s_nop 0
	v_writelane_b32 v254, s1, 20
	v_cmp_gt_i64_e64 s[0:1], 0, v[96:97]
	scratch_load_dwordx2 v[96:97], off, off offset:16 ; 8-byte Folded Reload
	v_ashrrev_i32_e32 v110, 31, v152
	v_writelane_b32 v254, s0, 21
	v_ashrrev_i32_e32 v152, 31, v1
	s_waitcnt vmcnt(1)
	v_mov_b32_e32 v102, v19
	v_writelane_b32 v254, s1, 22
	v_cmp_gt_i64_e64 s[0:1], 0, v[94:95]
	scratch_load_dwordx2 v[94:95], off, off offset:24 ; 8-byte Folded Reload
	v_mov_b32_e32 v106, v19
	v_writelane_b32 v254, s0, 23
	v_cmp_gt_i64_e64 s[8:9], 0, v[106:107]
	s_waitcnt vmcnt(0)
	v_mov_b32_e32 v94, v19
	v_writelane_b32 v254, s1, 24
	v_cmp_gt_i64_e64 s[0:1], 0, v[92:93]
	v_not_b32_e32 v93, v75
	v_ashrrev_i32_e32 v106, 31, v164
	v_writelane_b32 v254, s0, 25
	v_ashrrev_i32_e32 v164, 31, v40
	v_cmp_gt_i64_e64 s[20:21], 0, v[98:99]
	v_writelane_b32 v254, s1, 26
	v_cmp_gt_i64_e64 s[0:1], 0, v[90:91]
	v_not_b32_e32 v91, v77
	v_ashrrev_i32_e32 v90, 31, v196
	v_writelane_b32 v254, s0, 27
	v_ashrrev_i32_e32 v92, 31, v192
	v_ashrrev_i32_e32 v98, 31, v184
	v_writelane_b32 v254, s1, 28
	v_cmp_gt_i64_e64 s[0:1], 0, v[86:87]
	v_lshlrev_b32_e32 v86, 2, v28
	scratch_store_dword off, v86, off offset:296 ; 4-byte Folded Spill
	v_writelane_b32 v254, s0, 29
	v_ashrrev_i32_e32 v86, 31, v202
	v_not_b32_e32 v87, v73
	v_writelane_b32 v254, s1, 30
	v_cmp_gt_i64_e64 s[0:1], 0, v[82:83]
	v_ashrrev_i32_e32 v82, 31, v134
	scratch_store_dwordx2 off, v[82:83], off ; 8-byte Folded Spill
	v_writelane_b32 v254, s0, 31
	v_mov_b32_e32 v134, v19
	v_cmp_gt_i64_e64 s[58:59], 0, v[134:135]
	v_writelane_b32 v254, s1, 32
	v_cmp_gt_i64_e64 s[0:1], 0, v[78:79]
	v_ashrrev_i32_e32 v78, 31, v136
	scratch_store_dwordx2 off, v[78:79], off offset:8 ; 8-byte Folded Spill
	v_writelane_b32 v254, s0, 33
	v_not_b32_e32 v79, v69
	v_ashrrev_i32_e32 v78, 31, v138
	v_writelane_b32 v254, s1, 34
	v_cmp_gt_i64_e64 s[0:1], 0, v[88:89]
	v_ashrrev_i32_e32 v134, 31, v38
	v_not_b32_e32 v38, v155
	v_writelane_b32 v254, s0, 35
	v_not_b32_e32 v83, v71
	v_mov_b32_e32 v138, v19
	v_writelane_b32 v254, s1, 36
	v_cmp_gt_i64_e64 s[0:1], 0, v[84:85]
	v_cmp_gt_i64_e64 s[62:63], 0, v[138:139]
	v_ashrrev_i32_e32 v138, 31, v25
	v_writelane_b32 v254, s0, 37
	v_not_b32_e32 v25, v163
	v_not_b32_e32 v85, v65
	v_writelane_b32 v254, s1, 38
	v_cmp_gt_i64_e64 s[0:1], 0, v[80:81]
	v_ashrrev_i32_e32 v82, 31, v208
	v_ashrrev_i32_e32 v84, 31, v204
	v_writelane_b32 v254, s0, 39
	v_mov_b32_e32 v136, v19
	v_cmp_gt_i64_e64 s[60:61], 0, v[136:137]
	v_writelane_b32 v254, s1, 40
	v_cmp_gt_i64_e64 s[0:1], 0, v[76:77]
	v_ashrrev_i32_e32 v76, 31, v144
	v_mov_b32_e32 v144, v19
	v_writelane_b32 v254, s0, 41
	v_cmp_gt_i64_e64 s[68:69], 0, v[144:145]
	v_ashrrev_i32_e32 v144, 31, v21
	v_writelane_b32 v254, s1, 42
	v_cmp_gt_i64_e64 s[0:1], 0, v[74:75]
	v_ashrrev_i32_e32 v74, 31, v146
	v_mov_b32_e32 v146, v19
	v_writelane_b32 v254, s0, 43
	v_not_b32_e32 v21, v175
	v_cmp_gt_i64_e64 s[70:71], 0, v[146:147]
	v_writelane_b32 v254, s1, 44
	v_cmp_gt_i64_e64 s[0:1], 0, v[72:73]
	v_ashrrev_i32_e32 v146, 31, v13
	v_not_b32_e32 v13, v11
	v_writelane_b32 v254, s0, 45
	scratch_store_dwordx2 off, v[74:75], off offset:40 ; 8-byte Folded Spill
	v_ashrrev_i32_e32 v74, 31, v148
	v_writelane_b32 v254, s1, 46
	v_cmp_gt_i64_e64 s[0:1], 0, v[70:71]
	v_ashrrev_i32_e32 v70, 31, v150
	v_mov_b32_e32 v150, v19
	v_writelane_b32 v254, s0, 47
	v_cmp_gt_i64_e64 s[74:75], 0, v[150:151]
	v_ashrrev_i32_e32 v150, 31, v0
	v_writelane_b32 v254, s1, 48
	v_cmp_gt_i64_e64 s[0:1], 0, v[68:69]
	v_mov_b32_e32 v0, v28
	v_cmp_gt_u32_e64 s[94:95], s2, v0
	v_writelane_b32 v254, s0, 49
	v_ashrrev_i32_e32 v0, 31, v39
	scratch_store_dwordx2 off, v[70:71], off offset:56 ; 8-byte Folded Spill
	v_writelane_b32 v254, s1, 50
	v_cmp_gt_i64_e64 s[0:1], 0, v[66:67]
	v_ashrrev_i32_e32 v66, 31, v156
	scratch_store_dwordx2 off, v[66:67], off offset:72 ; 8-byte Folded Spill
	v_writelane_b32 v254, s0, 51
	v_not_b32_e32 v66, v51
	v_not_b32_e32 v71, v55
	v_writelane_b32 v254, s1, 52
	v_cmp_gt_i64_e64 s[0:1], 0, v[64:65]
	v_ashrrev_i32_e32 v64, 31, v158
	scratch_store_dwordx2 off, v[64:65], off offset:80 ; 8-byte Folded Spill
	v_writelane_b32 v254, s0, 53
	v_not_b32_e32 v64, v49
	v_ashrrev_i32_e32 v70, 31, v226
	v_writelane_b32 v254, s1, 54
	v_cmp_gt_i64_e64 s[0:1], 0, v[62:63]
	v_ashrrev_i32_e32 v62, 31, v162
	scratch_store_dwordx2 off, v[62:63], off offset:88 ; 8-byte Folded Spill
	v_writelane_b32 v254, s0, 55
	v_ashrrev_i32_e32 v136, 31, v27
	v_not_b32_e32 v27, v159
	v_writelane_b32 v254, s1, 56
	v_cmp_gt_i64_e64 s[0:1], 0, v[60:61]
	v_ashrrev_i32_e32 v60, 31, v166
	scratch_store_dwordx2 off, v[60:61], off offset:96 ; 8-byte Folded Spill
	v_writelane_b32 v254, s0, 57
	v_not_b32_e32 v81, v63
	v_not_b32_e32 v75, v59
	v_writelane_b32 v254, s1, 58
	v_cmp_gt_i64_e64 s[0:1], 0, v[58:59]
	v_ashrrev_i32_e32 v58, 31, v168
	v_not_b32_e32 v62, v47
	v_writelane_b32 v254, s0, 59
	scratch_store_dwordx2 off, v[58:59], off offset:104 ; 8-byte Folded Spill
	v_not_b32_e32 v47, v249
	v_writelane_b32 v254, s1, 60
	v_cmp_gt_i64_e64 s[0:1], 0, v[56:57]
	v_ashrrev_i32_e32 v56, 31, v170
	scratch_store_dwordx2 off, v[56:57], off offset:368 ; 8-byte Folded Spill
	v_writelane_b32 v254, s0, 61
	v_not_b32_e32 v56, v9
	v_not_b32_e32 v9, v3
	v_writelane_b32 v254, s1, 62
	v_cmp_gt_i64_e64 s[0:1], 0, v[54:55]
	v_ashrrev_i32_e32 v54, 31, v174
	scratch_store_dwordx2 off, v[54:55], off offset:376 ; 8-byte Folded Spill
	v_not_b32_e32 v54, v31
	v_mov_b64_e32 v[30:31], v[108:109]
	v_cmp_gt_i64_e64 s[22:23], 0, v[30:31]
	v_ashrrev_i32_e32 v30, 31, v21
	scratch_store_dwordx2 off, v[30:31], off offset:400 ; 8-byte Folded Spill
	v_ashrrev_i32_e32 v30, 31, v13
	v_not_b32_e32 v8, v31
	scratch_store_dwordx2 off, v[30:31], off offset:408 ; 8-byte Folded Spill
	scratch_load_dwordx2 v[30:31], off, off ; 8-byte Folded Reload
	v_mov_b32_e32 v174, v19
	scratch_store_dwordx2 off, v[78:79], off offset:16 ; 8-byte Folded Spill
	v_ashrrev_i32_e32 v78, 31, v140
	v_mov_b32_e32 v140, v19
	v_cmp_gt_i64_e64 s[64:65], 0, v[140:141]
	v_ashrrev_i32_e32 v140, 31, v24
	v_ashrrev_i32_e32 v24, 31, v44
	;; [unrolled: 1-line block ×3, first 2 shown]
	v_mov_b32_e32 v38, v74
	scratch_store_dwordx2 off, v[38:39], off offset:192 ; 8-byte Folded Spill
	scratch_load_dwordx2 v[38:39], off, off offset:96 ; 8-byte Folded Reload
	v_cmp_gt_i64_e64 s[86:87], 0, v[174:175]
	v_ashrrev_i32_e32 v174, 31, v83
	scratch_load_dword v83, off, off offset:356 ; 4-byte Folded Reload
	v_writelane_b32 v254, s0, 63
	scratch_store_dwordx2 off, v[78:79], off offset:24 ; 8-byte Folded Spill
	v_ashrrev_i32_e32 v78, 31, v142
	v_writelane_b32 v255, s1, 0
	v_cmp_gt_i64_e64 s[0:1], 0, v[52:53]
	v_not_b32_e32 v52, v33
	v_ashrrev_i32_e32 v206, 31, v54
	v_writelane_b32 v255, s0, 1
	v_ashrrev_i32_e32 v208, 31, v52
	v_ashrrev_i32_e32 v52, 31, v25
	v_writelane_b32 v255, s1, 2
	v_cmp_gt_i64_e64 s[0:1], 0, v[50:51]
	v_not_b32_e32 v50, v107
	v_not_b32_e32 v107, v171
	v_writelane_b32 v255, s0, 3
	v_not_b32_e32 v51, v241
	v_ashrrev_i32_e32 v54, 31, v107
	v_writelane_b32 v255, s1, 4
	v_cmp_gt_i64_e64 s[0:1], 0, v[48:49]
	v_not_b32_e32 v49, v245
	v_ashrrev_i32_e32 v204, 31, v56
	v_writelane_b32 v255, s0, 5
	v_ashrrev_i32_e32 v226, 31, v9
	v_ashrrev_i32_e32 v230, 31, v49
	v_writelane_b32 v255, s1, 6
	v_cmp_gt_i64_e64 s[0:1], 0, v[6:7]
	v_ashrrev_i32_e32 v6, 31, v214
	scratch_store_dwordx2 off, v[6:7], off offset:384 ; 8-byte Folded Spill
	v_ashrrev_i32_e32 v6, 31, v210
	v_ashrrev_i32_e32 v210, 31, v50
	;; [unrolled: 1-line block ×3, first 2 shown]
	scratch_load_dwordx2 v[32:33], off, off offset:88 ; 8-byte Folded Reload
	v_mov_b32_e32 v56, v86
	v_mov_b32_e32 v49, v52
	;; [unrolled: 1-line block ×3, first 2 shown]
	v_not_b32_e32 v59, v213
	v_mov_b32_e32 v162, v19
	v_ashrrev_i32_e32 v28, 31, v27
	v_cmp_gt_i64_e64 s[80:81], 0, v[162:163]
	v_ashrrev_i32_e32 v162, 31, v29
	v_ashrrev_i32_e32 v182, 31, v81
	;; [unrolled: 1-line block ×4, first 2 shown]
	v_mov_b32_e32 v81, v84
	v_mov_b32_e32 v47, v28
	v_not_b32_e32 v46, v103
	v_ashrrev_i32_e32 v214, 31, v46
	scratch_load_dword v46, off, off offset:364 ; 4-byte Folded Reload
	v_ashrrev_i32_e32 v68, 31, v154
	v_not_b32_e32 v73, v57
	scratch_store_dwordx2 off, v[68:69], off offset:64 ; 8-byte Folded Spill
	v_not_b32_e32 v57, v221
	v_ashrrev_i32_e32 v238, 31, v57
	v_ashrrev_i32_e32 v196, 31, v64
	v_not_b32_e32 v63, v189
	v_ashrrev_i32_e32 v194, 31, v66
	v_ashrrev_i32_e32 v248, 31, v63
	v_mov_b32_e32 v96, v19
	v_ashrrev_i32_e32 v80, 31, v216
	scratch_store_dwordx2 off, v[6:7], off offset:392 ; 8-byte Folded Spill
	v_not_b32_e32 v69, v169
	v_cmp_gt_i64_e64 s[16:17], 0, v[94:95]
	v_ashrrev_i32_e32 v94, 31, v190
	v_cmp_gt_i64_e64 s[18:19], 0, v[96:97]
	v_ashrrev_i32_e32 v96, 31, v186
	s_waitcnt vmcnt(10)
	v_mov_b32_e32 v1, v30
	scratch_load_dwordx2 v[30:31], off, off offset:8 ; 8-byte Folded Reload
	v_mov_b32_e32 v100, v19
	scratch_store_dwordx2 off, v[0:1], off offset:208 ; 8-byte Folded Spill
	scratch_store_dwordx2 off, v[78:79], off offset:32 ; 8-byte Folded Spill
	v_cmp_gt_i64_e64 s[14:15], 0, v[100:101]
	v_ashrrev_i32_e32 v100, 31, v180
	v_ashrrev_i32_e32 v180, 31, v85
	v_mov_b32_e32 v85, v86
	v_mov_b32_e32 v86, v52
	v_ashrrev_i32_e32 v78, 31, v218
	s_waitcnt vmcnt(10)
	v_mov_b32_e32 v59, v38
	scratch_load_dwordx2 v[38:39], off, off offset:104 ; 8-byte Folded Reload
	v_ashrrev_i32_e32 v186, 31, v75
	v_ashrrev_i32_e32 v188, 31, v73
	;; [unrolled: 1-line block ×4, first 2 shown]
	v_mov_b32_e32 v71, v78
	v_mov_b32_e32 v73, v80
	;; [unrolled: 1-line block ×3, first 2 shown]
	v_not_b32_e32 v89, v67
	v_not_b32_e32 v68, v53
	;; [unrolled: 1-line block ×4, first 2 shown]
	v_ashrrev_i32_e32 v72, 31, v178
	v_not_b32_e32 v4, v101
	v_not_b32_e32 v5, v95
	;; [unrolled: 1-line block ×4, first 2 shown]
	v_cmp_gt_i64_e64 s[12:13], 0, v[102:103]
	v_not_b32_e32 v53, v233
	v_not_b32_e32 v3, v201
	;; [unrolled: 1-line block ×3, first 2 shown]
	v_mov_b32_e32 v178, v19
	v_mov_b32_e32 v168, v19
	;; [unrolled: 1-line block ×3, first 2 shown]
	v_not_b32_e32 v67, v179
	v_not_b32_e32 v95, v157
	;; [unrolled: 1-line block ×6, first 2 shown]
	v_mov_b32_e32 v148, v19
	v_mov_b32_e32 v154, v19
	;; [unrolled: 1-line block ×4, first 2 shown]
	v_cmp_gt_i64_e64 s[66:67], 0, v[142:143]
	v_ashrrev_i32_e32 v142, 31, v10
	v_mov_b32_e32 v170, v19
	v_mov_b32_e32 v10, v19
	v_ashrrev_i32_e32 v88, 31, v198
	v_ashrrev_i32_e32 v102, 31, v176
	;; [unrolled: 1-line block ×3, first 2 shown]
	v_cmp_gt_i64_e64 s[52:53], 0, v[178:179]
	v_cmp_gt_i64_e64 s[54:55], 0, v[168:169]
	;; [unrolled: 1-line block ×4, first 2 shown]
	v_ashrrev_i32_e32 v148, 31, v20
	v_cmp_gt_i64_e64 s[76:77], 0, v[154:155]
	v_ashrrev_i32_e32 v154, 31, v12
	v_ashrrev_i32_e32 v156, 31, v22
	v_cmp_gt_i64_e64 s[78:79], 0, v[158:159]
	v_ashrrev_i32_e32 v158, 31, v23
	v_ashrrev_i32_e32 v160, 31, v26
	v_cmp_gt_i64_e64 s[82:83], 0, v[166:167]
	v_ashrrev_i32_e32 v166, 31, v45
	v_ashrrev_i32_e32 v168, 31, v91
	v_cmp_gt_i64_e64 s[84:85], 0, v[170:171]
	v_ashrrev_i32_e32 v170, 31, v93
	v_ashrrev_i32_e32 v176, 31, v79
	v_cmp_gt_i64_e64 s[88:89], 0, v[10:11]
	v_ashrrev_i32_e32 v178, 31, v89
	v_ashrrev_i32_e32 v192, 31, v68
	v_ashrrev_i32_e32 v198, 31, v62
	;; [unrolled: 1-line block ×9, first 2 shown]
	s_waitcnt vmcnt(3)
	v_mov_b32_e32 v1, v30
	scratch_load_dwordx2 v[30:31], off, off offset:16 ; 8-byte Folded Reload
	v_mov_b32_e32 v104, v19
	scratch_store_dwordx2 off, v[0:1], off offset:216 ; 8-byte Folded Spill
	v_not_b32_e32 v48, v105
	v_cmp_gt_i64_e64 s[10:11], 0, v[104:105]
	v_not_b32_e32 v105, v167
	v_ashrrev_i32_e32 v50, 31, v105
	v_mov_b32_e32 v52, v50
	v_mov_b32_e32 v9, v50
	;; [unrolled: 1-line block ×3, first 2 shown]
	scratch_load_dwordx2 v[54:55], off, off offset:408 ; 8-byte Folded Reload
	v_ashrrev_i32_e32 v212, 31, v48
	scratch_load_dword v48, off, off offset:352 ; 4-byte Folded Reload
	v_mov_b32_e32 v33, v32
	v_mov_b32_e32 v32, v84
	;; [unrolled: 1-line block ×3, first 2 shown]
	scratch_load_dwordx2 v[28:29], off, off offset:400 ; 8-byte Folded Reload
	v_ashrrev_i32_e32 v104, 31, v172
	scratch_store_dwordx2 off, v[76:77], off offset:48 ; 8-byte Folded Spill
	v_ashrrev_i32_e32 v172, 31, v87
	scratch_load_dword v87, off, off offset:360 ; 4-byte Folded Reload
	s_waitcnt vmcnt(7)
	v_mov_b32_e32 v57, v38
	scratch_load_dwordx2 v[38:39], off, off offset:368 ; 8-byte Folded Reload
	v_not_b32_e32 v77, v61
	v_not_b32_e32 v61, v195
	v_ashrrev_i32_e32 v246, 31, v61
	v_ashrrev_i32_e32 v76, 31, v222
	v_mov_b32_e32 v69, v76
	v_ashrrev_i32_e32 v184, 31, v77
	v_ashrrev_i32_e32 v222, 31, v7
	;; [unrolled: 1-line block ×13, first 2 shown]
	v_mov_b32_e32 v68, v72
	v_mov_b32_e32 v65, v72
	;; [unrolled: 1-line block ×39, first 2 shown]
	s_waitcnt vmcnt(7)
	v_mov_b32_e32 v1, v30
	scratch_load_dwordx2 v[30:31], off, off offset:24 ; 8-byte Folded Reload
	v_mov_b32_e32 v173, v172
	scratch_store_dwordx2 off, v[0:1], off offset:224 ; 8-byte Folded Spill
	v_mov_b32_e32 v175, v174
	v_mov_b32_e32 v177, v176
	;; [unrolled: 1-line block ×18, first 2 shown]
	s_waitcnt vmcnt(2)
	v_mov_b32_e32 v64, v38
	v_mov_b32_e32 v61, v38
	scratch_load_dwordx2 v[38:39], off, off offset:376 ; 8-byte Folded Reload
	v_mov_b32_e32 v211, v210
	v_mov_b32_e32 v213, v212
	;; [unrolled: 1-line block ×29, first 2 shown]
	v_lshl_add_u64 v[42:43], v[18:19], 0, -1
	v_mov_b32_e32 v45, v0
	v_mov_b32_e32 v82, v44
	;; [unrolled: 1-line block ×8, first 2 shown]
	s_waitcnt vmcnt(2)
	v_mov_b32_e32 v1, v30
	scratch_load_dwordx2 v[30:31], off, off offset:32 ; 8-byte Folded Reload
	s_waitcnt vmcnt(1)
	v_mov_b32_e32 v66, v38
	scratch_store_dwordx2 off, v[0:1], off offset:232 ; 8-byte Folded Spill
	v_mov_b32_e32 v1, v74
	scratch_store_dwordx2 off, v[0:1], off offset:240 ; 8-byte Folded Spill
	v_mov_b32_e32 v63, v38
	scratch_load_dwordx2 v[38:39], off, off offset:384 ; 8-byte Folded Reload
	v_mov_b32_e32 v74, v76
	v_mov_b32_e32 v76, v78
	;; [unrolled: 1-line block ×3, first 2 shown]
	s_waitcnt vmcnt(3)
	v_mov_b32_e32 v1, v30
	scratch_load_dwordx2 v[30:31], off, off offset:40 ; 8-byte Folded Reload
	s_waitcnt vmcnt(1)
	v_mov_b32_e32 v80, v38
	scratch_store_dwordx2 off, v[0:1], off offset:248 ; 8-byte Folded Spill
	v_mov_b32_e32 v75, v38
	scratch_load_dwordx2 v[38:39], off, off offset:392 ; 8-byte Folded Reload
	s_waitcnt vmcnt(0)
	v_mov_b32_e32 v39, v24
	v_mov_b32_e32 v1, v30
	scratch_load_dwordx2 v[30:31], off, off offset:48 ; 8-byte Folded Reload
	v_mov_b32_e32 v77, v38
	scratch_store_dwordx2 off, v[0:1], off offset:256 ; 8-byte Folded Spill
	s_waitcnt vmcnt(1)
	v_mov_b32_e32 v1, v30
	scratch_load_dwordx2 v[30:31], off, off offset:56 ; 8-byte Folded Reload
	s_nop 0
	scratch_store_dwordx2 off, v[0:1], off offset:264 ; 8-byte Folded Spill
	s_waitcnt vmcnt(1)
	v_mov_b32_e32 v1, v30
	scratch_load_dwordx2 v[30:31], off, off offset:64 ; 8-byte Folded Reload
	s_nop 0
	;; [unrolled: 5-line block ×3, first 2 shown]
	scratch_store_dwordx2 off, v[0:1], off offset:280 ; 8-byte Folded Spill
	s_waitcnt vmcnt(1)
	v_mov_b32_e32 v1, v30
	scratch_load_dwordx2 v[30:31], off, off offset:80 ; 8-byte Folded Reload
	s_waitcnt vmcnt(0)
	v_mov_b32_e32 v31, v30
	scratch_store_dwordx2 off, v[0:1], off offset:288 ; 8-byte Folded Spill
	v_mov_b32_e32 v30, v38
	v_mov_b32_e32 v1, v2
	s_branch .LBB17_2
.LBB17_1:                               ;   in Loop: Header=BB17_2 Depth=1
	s_or_b64 exec, exec, s[2:3]
	s_add_i32 s33, s33, -1
	s_cmp_eq_u32 s33, 0
	s_waitcnt lgkmcnt(0)
	s_barrier
	s_cbranch_scc1 .LBB17_36
.LBB17_2:                               ; =>This Inner Loop Header: Depth=1
	s_and_saveexec_b64 s[2:3], s[94:95]
	s_cbranch_execz .LBB17_4
; %bb.3:                                ;   in Loop: Header=BB17_2 Depth=1
	scratch_load_dword v18, off, off offset:296 ; 4-byte Folded Reload
	s_waitcnt vmcnt(0)
	ds_write_b32 v18, v19
.LBB17_4:                               ;   in Loop: Header=BB17_2 Depth=1
	s_or_b64 exec, exec, s[2:3]
	s_waitcnt lgkmcnt(0)
	s_barrier
	scratch_load_dwordx2 v[54:55], off, off offset:112 ; 8-byte Folded Reload
	v_readlane_b32 s2, v252, 5
	v_readlane_b32 s3, v252, 6
	s_nop 1
	v_cndmask_b32_e64 v18, 0, 1, s[2:3]
	v_cmp_ne_u32_e32 vcc, 0, v18
	v_readlane_b32 s2, v252, 35
	v_readlane_b32 s3, v252, 36
	s_waitcnt vmcnt(0)
	v_xor_b32_e32 v18, vcc_hi, v55
	v_xor_b32_e32 v38, vcc_lo, v54
	scratch_load_dwordx2 v[54:55], off, off offset:208 ; 8-byte Folded Reload
	v_cndmask_b32_e64 v40, 0, 1, s[2:3]
	v_cmp_ne_u32_e32 vcc, 0, v40
	v_readlane_b32 s2, v252, 37
	v_and_b32_e32 v18, exec_hi, v18
	v_readlane_b32 s3, v252, 38
	v_and_b32_e32 v38, exec_lo, v38
	s_waitcnt vmcnt(0)
	v_xor_b32_e32 v40, vcc_hi, v55
	scratch_load_dwordx2 v[54:55], off, off ; 8-byte Folded Reload
	v_and_b32_e32 v18, v18, v40
	v_cndmask_b32_e64 v40, 0, 1, s[2:3]
	v_readlane_b32 s2, v252, 39
	v_readlane_b32 s3, v252, 40
	s_waitcnt vmcnt(0)
	v_xor_b32_e32 v44, vcc_lo, v54
	scratch_load_dwordx2 v[54:55], off, off offset:216 ; 8-byte Folded Reload
	v_cmp_ne_u32_e32 vcc, 0, v40
	v_and_b32_e32 v38, v38, v44
	s_waitcnt vmcnt(0)
	v_xor_b32_e32 v40, vcc_hi, v55
	scratch_load_dwordx2 v[54:55], off, off offset:8 ; 8-byte Folded Reload
	v_and_b32_e32 v18, v18, v40
	v_cndmask_b32_e64 v40, 0, 1, s[2:3]
	v_readlane_b32 s2, v252, 41
	v_readlane_b32 s3, v252, 42
	s_waitcnt vmcnt(0)
	v_xor_b32_e32 v44, vcc_lo, v54
	scratch_load_dwordx2 v[54:55], off, off offset:224 ; 8-byte Folded Reload
	v_cmp_ne_u32_e32 vcc, 0, v40
	v_and_b32_e32 v38, v38, v44
	s_waitcnt vmcnt(0)
	v_xor_b32_e32 v40, vcc_hi, v55
	scratch_load_dwordx2 v[54:55], off, off offset:16 ; 8-byte Folded Reload
	;; [unrolled: 12-line block ×6, first 2 shown]
	v_and_b32_e32 v18, v18, v40
	v_cndmask_b32_e64 v40, 0, 1, s[2:3]
	s_waitcnt vmcnt(0)
	v_xor_b32_e32 v44, vcc_lo, v54
	scratch_load_dwordx2 v[54:55], off, off offset:240 ; 8-byte Folded Reload
	v_cmp_ne_u32_e32 vcc, 0, v40
	v_and_b32_e32 v38, v38, v44
	s_waitcnt vmcnt(0)
	v_xor_b32_e32 v40, vcc_hi, v55
	scratch_load_dwordx2 v[54:55], off, off offset:192 ; 8-byte Folded Reload
	s_waitcnt vmcnt(0)
	v_and_b32_e32 v55, v18, v40
	v_xor_b32_e32 v44, vcc_lo, v54
	v_and_b32_e32 v18, v38, v44
	v_mbcnt_lo_u32_b32 v38, v18, 0
	v_mbcnt_hi_u32_b32 v38, v55, v38
	v_cmp_eq_u32_e32 vcc, 0, v38
	s_and_saveexec_b64 s[2:3], vcc
	s_cbranch_execz .LBB17_6
; %bb.5:                                ;   in Loop: Header=BB17_2 Depth=1
	v_bcnt_u32_b32 v18, v18, 0
	v_bcnt_u32_b32 v18, v55, v18
	ds_add_u32 v46, v18
.LBB17_6:                               ;   in Loop: Header=BB17_2 Depth=1
	s_or_b64 exec, exec, s[2:3]
	scratch_load_dwordx2 v[54:55], off, off offset:120 ; 8-byte Folded Reload
	v_readlane_b32 s2, v252, 7
	v_readlane_b32 s3, v252, 8
	s_nop 1
	v_cndmask_b32_e64 v18, 0, 1, s[2:3]
	v_cmp_ne_u32_e32 vcc, 0, v18
	v_readlane_b32 s2, v252, 51
	v_readlane_b32 s3, v252, 52
	s_waitcnt vmcnt(0)
	v_xor_b32_e32 v18, vcc_hi, v55
	v_xor_b32_e32 v38, vcc_lo, v54
	scratch_load_dwordx2 v[54:55], off, off offset:272 ; 8-byte Folded Reload
	v_cndmask_b32_e64 v40, 0, 1, s[2:3]
	v_cmp_ne_u32_e32 vcc, 0, v40
	v_readlane_b32 s2, v252, 53
	v_and_b32_e32 v18, exec_hi, v18
	v_readlane_b32 s3, v252, 54
	v_and_b32_e32 v38, exec_lo, v38
	s_waitcnt vmcnt(0)
	v_xor_b32_e32 v40, vcc_hi, v55
	scratch_load_dwordx2 v[54:55], off, off offset:56 ; 8-byte Folded Reload
	v_and_b32_e32 v18, v18, v40
	v_cndmask_b32_e64 v40, 0, 1, s[2:3]
	v_readlane_b32 s2, v252, 55
	v_readlane_b32 s3, v252, 56
	s_waitcnt vmcnt(0)
	v_xor_b32_e32 v44, vcc_lo, v54
	scratch_load_dwordx2 v[54:55], off, off offset:280 ; 8-byte Folded Reload
	v_cmp_ne_u32_e32 vcc, 0, v40
	v_and_b32_e32 v38, v38, v44
	s_waitcnt vmcnt(0)
	v_xor_b32_e32 v40, vcc_hi, v55
	scratch_load_dwordx2 v[54:55], off, off offset:64 ; 8-byte Folded Reload
	v_and_b32_e32 v18, v18, v40
	v_cndmask_b32_e64 v40, 0, 1, s[2:3]
	v_readlane_b32 s2, v252, 57
	v_readlane_b32 s3, v252, 58
	s_waitcnt vmcnt(0)
	v_xor_b32_e32 v44, vcc_lo, v54
	scratch_load_dwordx2 v[54:55], off, off offset:288 ; 8-byte Folded Reload
	v_cmp_ne_u32_e32 vcc, 0, v40
	v_and_b32_e32 v38, v38, v44
	;; [unrolled: 12-line block ×3, first 2 shown]
	s_nop 0
	v_xor_b32_e32 v40, vcc_hi, v31
	v_and_b32_e32 v18, v18, v40
	v_cndmask_b32_e64 v40, 0, 1, s[2:3]
	v_readlane_b32 s2, v252, 61
	v_readlane_b32 s3, v252, 62
	s_waitcnt vmcnt(0)
	v_xor_b32_e32 v44, vcc_lo, v54
	scratch_load_dwordx2 v[54:55], off, off offset:88 ; 8-byte Folded Reload
	v_cmp_ne_u32_e32 vcc, 0, v40
	v_and_b32_e32 v38, v38, v44
	s_nop 0
	v_xor_b32_e32 v40, vcc_hi, v33
	v_and_b32_e32 v18, v18, v40
	v_cndmask_b32_e64 v40, 0, 1, s[2:3]
	v_readlane_b32 s2, v252, 63
	v_readlane_b32 s3, v253, 0
	s_waitcnt vmcnt(0)
	v_xor_b32_e32 v44, vcc_lo, v54
	scratch_load_dwordx2 v[54:55], off, off offset:96 ; 8-byte Folded Reload
	v_cmp_ne_u32_e32 vcc, 0, v40
	v_and_b32_e32 v38, v38, v44
	;; [unrolled: 11-line block ×3, first 2 shown]
	s_nop 0
	v_xor_b32_e32 v40, vcc_hi, v57
	v_and_b32_e32 v18, v18, v40
	v_cndmask_b32_e64 v40, 0, 1, s[2:3]
	s_waitcnt vmcnt(0)
	v_xor_b32_e32 v44, vcc_lo, v54
	v_and_b32_e32 v38, v38, v44
	v_cmp_ne_u32_e32 vcc, 0, v40
	v_mov_b32_e32 v44, v64
	s_nop 0
	v_xor_b32_e32 v40, vcc_hi, v61
	v_xor_b32_e32 v44, vcc_lo, v44
	v_and_b32_e32 v55, v18, v40
	v_and_b32_e32 v18, v38, v44
	v_mbcnt_lo_u32_b32 v38, v18, 0
	v_mbcnt_hi_u32_b32 v38, v55, v38
	v_cmp_eq_u32_e32 vcc, 0, v38
	s_and_saveexec_b64 s[2:3], vcc
	s_cbranch_execz .LBB17_8
; %bb.7:                                ;   in Loop: Header=BB17_2 Depth=1
	v_bcnt_u32_b32 v18, v18, 0
	v_bcnt_u32_b32 v18, v55, v18
	ds_add_u32 v48, v18
.LBB17_8:                               ;   in Loop: Header=BB17_2 Depth=1
	s_or_b64 exec, exec, s[2:3]
	scratch_load_dwordx2 v[54:55], off, off offset:128 ; 8-byte Folded Reload
	v_readlane_b32 s2, v252, 9
	v_readlane_b32 s3, v252, 10
	v_mov_b32_e32 v44, v66
	s_nop 0
	v_cndmask_b32_e64 v18, 0, 1, s[2:3]
	v_readlane_b32 s2, v253, 3
	v_readlane_b32 s3, v253, 4
	v_cmp_ne_u32_e32 vcc, 0, v18
	s_nop 0
	v_cndmask_b32_e64 v40, 0, 1, s[2:3]
	v_readlane_b32 s2, v253, 5
	v_readlane_b32 s3, v253, 6
	s_waitcnt vmcnt(0)
	v_xor_b32_e32 v18, vcc_hi, v55
	v_xor_b32_e32 v38, vcc_lo, v54
	v_cmp_ne_u32_e32 vcc, 0, v40
	v_and_b32_e32 v18, exec_hi, v18
	v_and_b32_e32 v38, exec_lo, v38
	v_xor_b32_e32 v40, vcc_hi, v63
	v_and_b32_e32 v18, v18, v40
	v_cndmask_b32_e64 v40, 0, 1, s[2:3]
	v_xor_b32_e32 v44, vcc_lo, v44
	v_cmp_ne_u32_e32 vcc, 0, v40
	v_readlane_b32 s2, v253, 7
	v_readlane_b32 s3, v253, 8
	v_xor_b32_e32 v40, vcc_hi, v65
	v_and_b32_e32 v38, v38, v44
	v_mov_b32_e32 v44, v68
	v_and_b32_e32 v18, v18, v40
	v_cndmask_b32_e64 v40, 0, 1, s[2:3]
	v_xor_b32_e32 v44, vcc_lo, v44
	v_cmp_ne_u32_e32 vcc, 0, v40
	v_readlane_b32 s2, v253, 9
	v_readlane_b32 s3, v253, 10
	v_xor_b32_e32 v40, vcc_hi, v67
	v_and_b32_e32 v38, v38, v44
	v_mov_b32_e32 v44, v72
	;; [unrolled: 9-line block ×5, first 2 shown]
	v_and_b32_e32 v18, v18, v40
	v_cndmask_b32_e64 v40, 0, 1, s[2:3]
	v_xor_b32_e32 v44, vcc_lo, v44
	v_cmp_ne_u32_e32 vcc, 0, v40
	v_readlane_b32 s2, v253, 17
	v_and_b32_e32 v38, v38, v44
	v_xor_b32_e32 v40, vcc_hi, v75
	v_mov_b32_e32 v44, v80
	v_readlane_b32 s3, v253, 18
	v_xor_b32_e32 v44, vcc_lo, v44
	v_and_b32_e32 v18, v18, v40
	v_cndmask_b32_e64 v40, 0, 1, s[2:3]
	v_and_b32_e32 v38, v38, v44
	v_cmp_ne_u32_e32 vcc, 0, v40
	v_mov_b32_e32 v44, v30
	s_nop 0
	v_xor_b32_e32 v40, vcc_hi, v77
	v_xor_b32_e32 v44, vcc_lo, v44
	v_and_b32_e32 v55, v18, v40
	v_and_b32_e32 v18, v38, v44
	v_mbcnt_lo_u32_b32 v38, v18, 0
	v_mbcnt_hi_u32_b32 v38, v55, v38
	v_cmp_eq_u32_e32 vcc, 0, v38
	s_and_saveexec_b64 s[2:3], vcc
	s_cbranch_execz .LBB17_10
; %bb.9:                                ;   in Loop: Header=BB17_2 Depth=1
	v_bcnt_u32_b32 v18, v18, 0
	v_bcnt_u32_b32 v18, v55, v18
	ds_add_u32 v83, v18
.LBB17_10:                              ;   in Loop: Header=BB17_2 Depth=1
	s_or_b64 exec, exec, s[2:3]
	scratch_load_dwordx2 v[54:55], off, off offset:136 ; 8-byte Folded Reload
	v_readlane_b32 s2, v252, 11
	v_readlane_b32 s3, v252, 12
	v_mov_b32_e32 v44, v60
	v_mov_b32_e32 v28, v32
	v_cndmask_b32_e64 v18, 0, 1, s[2:3]
	v_readlane_b32 s2, v253, 19
	v_readlane_b32 s3, v253, 20
	v_cmp_ne_u32_e32 vcc, 0, v18
	s_nop 0
	v_cndmask_b32_e64 v40, 0, 1, s[2:3]
	v_readlane_b32 s2, v253, 21
	v_readlane_b32 s3, v253, 22
	s_waitcnt vmcnt(0)
	v_xor_b32_e32 v18, vcc_hi, v55
	v_xor_b32_e32 v38, vcc_lo, v54
	v_cmp_ne_u32_e32 vcc, 0, v40
	v_and_b32_e32 v18, exec_hi, v18
	v_and_b32_e32 v38, exec_lo, v38
	v_xor_b32_e32 v40, vcc_hi, v79
	v_and_b32_e32 v18, v18, v40
	v_cndmask_b32_e64 v40, 0, 1, s[2:3]
	v_xor_b32_e32 v44, vcc_lo, v44
	v_cmp_ne_u32_e32 vcc, 0, v40
	v_readlane_b32 s2, v253, 23
	v_readlane_b32 s3, v253, 24
	v_xor_b32_e32 v40, vcc_hi, v81
	v_and_b32_e32 v18, v18, v40
	v_cndmask_b32_e64 v40, 0, 1, s[2:3]
	v_and_b32_e32 v38, v38, v44
	v_xor_b32_e32 v44, vcc_lo, v28
	v_cmp_ne_u32_e32 vcc, 0, v40
	v_readlane_b32 s2, v253, 25
	v_readlane_b32 s3, v253, 26
	v_xor_b32_e32 v40, vcc_hi, v85
	v_mov_b32_e32 v28, v56
	v_and_b32_e32 v18, v18, v40
	v_cndmask_b32_e64 v40, 0, 1, s[2:3]
	v_and_b32_e32 v38, v38, v44
	v_xor_b32_e32 v44, vcc_lo, v28
	v_cmp_ne_u32_e32 vcc, 0, v40
	v_readlane_b32 s2, v253, 27
	v_readlane_b32 s3, v253, 28
	v_xor_b32_e32 v40, vcc_hi, v89
	v_mov_b32_e32 v28, v62
	;; [unrolled: 9-line block ×3, first 2 shown]
	v_and_b32_e32 v18, v18, v40
	v_cndmask_b32_e64 v40, 0, 1, s[2:3]
	v_and_b32_e32 v38, v38, v44
	v_xor_b32_e32 v44, vcc_lo, v28
	v_cmp_ne_u32_e32 vcc, 0, v40
	v_readlane_b32 s2, v253, 31
	v_readlane_b32 s3, v253, 32
	v_xor_b32_e32 v40, vcc_hi, v93
	v_and_b32_e32 v18, v18, v40
	v_cndmask_b32_e64 v40, 0, 1, s[2:3]
	v_and_b32_e32 v38, v38, v44
	v_xor_b32_e32 v44, vcc_lo, v92
	v_cmp_ne_u32_e32 vcc, 0, v40
	v_readlane_b32 s2, v253, 33
	v_readlane_b32 s3, v253, 34
	v_xor_b32_e32 v40, vcc_hi, v95
	v_and_b32_e32 v18, v18, v40
	v_cndmask_b32_e64 v40, 0, 1, s[2:3]
	v_and_b32_e32 v38, v38, v44
	v_xor_b32_e32 v44, vcc_lo, v94
	v_cmp_ne_u32_e32 vcc, 0, v40
	v_and_b32_e32 v38, v38, v44
	s_nop 0
	v_xor_b32_e32 v40, vcc_hi, v97
	v_xor_b32_e32 v44, vcc_lo, v96
	v_and_b32_e32 v55, v18, v40
	v_and_b32_e32 v18, v38, v44
	v_mbcnt_lo_u32_b32 v38, v18, 0
	v_mbcnt_hi_u32_b32 v38, v55, v38
	v_cmp_eq_u32_e32 vcc, 0, v38
	s_and_saveexec_b64 s[2:3], vcc
	s_cbranch_execz .LBB17_12
; %bb.11:                               ;   in Loop: Header=BB17_2 Depth=1
	v_bcnt_u32_b32 v18, v18, 0
	v_bcnt_u32_b32 v18, v55, v18
	ds_add_u32 v87, v18
.LBB17_12:                              ;   in Loop: Header=BB17_2 Depth=1
	s_or_b64 exec, exec, s[2:3]
	scratch_load_dwordx2 v[54:55], off, off offset:144 ; 8-byte Folded Reload
	v_readlane_b32 s2, v252, 13
	v_readlane_b32 s3, v252, 14
	s_nop 1
	v_cndmask_b32_e64 v18, 0, 1, s[2:3]
	v_readlane_b32 s2, v253, 35
	v_readlane_b32 s3, v253, 36
	v_cmp_ne_u32_e32 vcc, 0, v18
	s_nop 0
	v_cndmask_b32_e64 v40, 0, 1, s[2:3]
	v_readlane_b32 s2, v253, 37
	v_readlane_b32 s3, v253, 38
	s_waitcnt vmcnt(0)
	v_xor_b32_e32 v18, vcc_hi, v55
	v_xor_b32_e32 v38, vcc_lo, v54
	v_cmp_ne_u32_e32 vcc, 0, v40
	v_and_b32_e32 v18, exec_hi, v18
	v_and_b32_e32 v38, exec_lo, v38
	v_xor_b32_e32 v40, vcc_hi, v99
	v_and_b32_e32 v18, v18, v40
	v_cndmask_b32_e64 v40, 0, 1, s[2:3]
	v_xor_b32_e32 v44, vcc_lo, v98
	v_cmp_ne_u32_e32 vcc, 0, v40
	v_readlane_b32 s2, v253, 39
	v_readlane_b32 s3, v253, 40
	v_xor_b32_e32 v40, vcc_hi, v101
	v_and_b32_e32 v18, v18, v40
	v_cndmask_b32_e64 v40, 0, 1, s[2:3]
	v_and_b32_e32 v38, v38, v44
	v_xor_b32_e32 v44, vcc_lo, v100
	v_cmp_ne_u32_e32 vcc, 0, v40
	v_readlane_b32 s2, v253, 41
	v_readlane_b32 s3, v253, 42
	v_xor_b32_e32 v40, vcc_hi, v103
	v_and_b32_e32 v18, v18, v40
	v_cndmask_b32_e64 v40, 0, 1, s[2:3]
	v_and_b32_e32 v38, v38, v44
	;; [unrolled: 8-line block ×6, first 2 shown]
	v_xor_b32_e32 v44, vcc_lo, v110
	v_cmp_ne_u32_e32 vcc, 0, v40
	v_and_b32_e32 v38, v38, v44
	s_nop 0
	v_xor_b32_e32 v40, vcc_hi, v113
	v_xor_b32_e32 v44, vcc_lo, v112
	v_and_b32_e32 v55, v18, v40
	v_and_b32_e32 v18, v38, v44
	v_mbcnt_lo_u32_b32 v38, v18, 0
	v_mbcnt_hi_u32_b32 v38, v55, v38
	v_cmp_eq_u32_e32 vcc, 0, v38
	s_and_saveexec_b64 s[2:3], vcc
	s_cbranch_execz .LBB17_14
; %bb.13:                               ;   in Loop: Header=BB17_2 Depth=1
	scratch_load_dword v28, off, off offset:344 ; 4-byte Folded Reload
	v_bcnt_u32_b32 v18, v18, 0
	v_bcnt_u32_b32 v18, v55, v18
	s_waitcnt vmcnt(0)
	ds_add_u32 v28, v18
.LBB17_14:                              ;   in Loop: Header=BB17_2 Depth=1
	s_or_b64 exec, exec, s[2:3]
	scratch_load_dwordx2 v[54:55], off, off offset:152 ; 8-byte Folded Reload
	v_readlane_b32 s2, v252, 15
	v_readlane_b32 s3, v252, 16
	s_nop 1
	v_cndmask_b32_e64 v18, 0, 1, s[2:3]
	v_readlane_b32 s2, v253, 51
	v_readlane_b32 s3, v253, 52
	v_cmp_ne_u32_e32 vcc, 0, v18
	s_nop 0
	v_cndmask_b32_e64 v40, 0, 1, s[2:3]
	v_readlane_b32 s2, v253, 53
	v_readlane_b32 s3, v253, 54
	s_waitcnt vmcnt(0)
	v_xor_b32_e32 v18, vcc_hi, v55
	v_xor_b32_e32 v38, vcc_lo, v54
	v_cmp_ne_u32_e32 vcc, 0, v40
	v_and_b32_e32 v18, exec_hi, v18
	v_and_b32_e32 v38, exec_lo, v38
	v_xor_b32_e32 v40, vcc_hi, v115
	v_and_b32_e32 v18, v18, v40
	v_cndmask_b32_e64 v40, 0, 1, s[2:3]
	v_xor_b32_e32 v44, vcc_lo, v114
	v_cmp_ne_u32_e32 vcc, 0, v40
	v_readlane_b32 s2, v253, 55
	v_readlane_b32 s3, v253, 56
	v_xor_b32_e32 v40, vcc_hi, v117
	v_and_b32_e32 v18, v18, v40
	v_cndmask_b32_e64 v40, 0, 1, s[2:3]
	v_and_b32_e32 v38, v38, v44
	v_xor_b32_e32 v44, vcc_lo, v116
	v_cmp_ne_u32_e32 vcc, 0, v40
	v_readlane_b32 s2, v253, 57
	v_readlane_b32 s3, v253, 58
	v_xor_b32_e32 v40, vcc_hi, v119
	v_and_b32_e32 v18, v18, v40
	v_cndmask_b32_e64 v40, 0, 1, s[2:3]
	v_and_b32_e32 v38, v38, v44
	;; [unrolled: 8-line block ×6, first 2 shown]
	v_xor_b32_e32 v44, vcc_lo, v126
	v_cmp_ne_u32_e32 vcc, 0, v40
	v_and_b32_e32 v38, v38, v44
	s_nop 0
	v_xor_b32_e32 v40, vcc_hi, v129
	v_xor_b32_e32 v44, vcc_lo, v128
	v_and_b32_e32 v55, v18, v40
	v_and_b32_e32 v18, v38, v44
	v_mbcnt_lo_u32_b32 v38, v18, 0
	v_mbcnt_hi_u32_b32 v38, v55, v38
	v_cmp_eq_u32_e32 vcc, 0, v38
	s_and_saveexec_b64 s[2:3], vcc
	s_cbranch_execz .LBB17_16
; %bb.15:                               ;   in Loop: Header=BB17_2 Depth=1
	scratch_load_dword v38, off, off offset:300 ; 4-byte Folded Reload
	v_bcnt_u32_b32 v18, v18, 0
	v_bcnt_u32_b32 v18, v55, v18
	s_waitcnt vmcnt(0)
	ds_add_u32 v38, v18
.LBB17_16:                              ;   in Loop: Header=BB17_2 Depth=1
	s_or_b64 exec, exec, s[2:3]
	scratch_load_dwordx2 v[54:55], off, off offset:160 ; 8-byte Folded Reload
	v_readlane_b32 s2, v252, 17
	v_readlane_b32 s3, v252, 18
	s_nop 1
	v_cndmask_b32_e64 v18, 0, 1, s[2:3]
	v_readlane_b32 s2, v254, 3
	v_readlane_b32 s3, v254, 4
	v_cmp_ne_u32_e32 vcc, 0, v18
	s_nop 0
	v_cndmask_b32_e64 v40, 0, 1, s[2:3]
	v_readlane_b32 s2, v254, 5
	v_readlane_b32 s3, v254, 6
	s_waitcnt vmcnt(0)
	v_xor_b32_e32 v18, vcc_hi, v55
	v_xor_b32_e32 v38, vcc_lo, v54
	v_cmp_ne_u32_e32 vcc, 0, v40
	v_and_b32_e32 v18, exec_hi, v18
	v_and_b32_e32 v38, exec_lo, v38
	v_xor_b32_e32 v40, vcc_hi, v131
	v_and_b32_e32 v18, v18, v40
	v_cndmask_b32_e64 v40, 0, 1, s[2:3]
	v_xor_b32_e32 v44, vcc_lo, v130
	v_cmp_ne_u32_e32 vcc, 0, v40
	v_readlane_b32 s2, v254, 7
	v_readlane_b32 s3, v254, 8
	v_xor_b32_e32 v40, vcc_hi, v133
	v_and_b32_e32 v18, v18, v40
	v_cndmask_b32_e64 v40, 0, 1, s[2:3]
	v_and_b32_e32 v38, v38, v44
	v_xor_b32_e32 v44, vcc_lo, v132
	v_cmp_ne_u32_e32 vcc, 0, v40
	v_readlane_b32 s2, v254, 9
	v_readlane_b32 s3, v254, 10
	v_xor_b32_e32 v40, vcc_hi, v135
	v_and_b32_e32 v18, v18, v40
	v_cndmask_b32_e64 v40, 0, 1, s[2:3]
	v_and_b32_e32 v38, v38, v44
	;; [unrolled: 8-line block ×6, first 2 shown]
	v_xor_b32_e32 v44, vcc_lo, v142
	v_cmp_ne_u32_e32 vcc, 0, v40
	v_and_b32_e32 v38, v38, v44
	s_nop 0
	v_xor_b32_e32 v40, vcc_hi, v145
	v_xor_b32_e32 v44, vcc_lo, v144
	v_and_b32_e32 v55, v18, v40
	v_and_b32_e32 v18, v38, v44
	v_mbcnt_lo_u32_b32 v38, v18, 0
	v_mbcnt_hi_u32_b32 v38, v55, v38
	v_cmp_eq_u32_e32 vcc, 0, v38
	s_and_saveexec_b64 s[2:3], vcc
	s_cbranch_execz .LBB17_18
; %bb.17:                               ;   in Loop: Header=BB17_2 Depth=1
	scratch_load_dword v38, off, off offset:304 ; 4-byte Folded Reload
	v_bcnt_u32_b32 v18, v18, 0
	v_bcnt_u32_b32 v18, v55, v18
	s_waitcnt vmcnt(0)
	ds_add_u32 v38, v18
.LBB17_18:                              ;   in Loop: Header=BB17_2 Depth=1
	s_or_b64 exec, exec, s[2:3]
	scratch_load_dwordx2 v[54:55], off, off offset:168 ; 8-byte Folded Reload
	v_readlane_b32 s2, v252, 19
	v_readlane_b32 s3, v252, 20
	s_nop 1
	v_cndmask_b32_e64 v18, 0, 1, s[2:3]
	v_readlane_b32 s2, v254, 19
	v_readlane_b32 s3, v254, 20
	v_cmp_ne_u32_e32 vcc, 0, v18
	s_nop 0
	v_cndmask_b32_e64 v40, 0, 1, s[2:3]
	v_readlane_b32 s2, v254, 21
	v_readlane_b32 s3, v254, 22
	s_waitcnt vmcnt(0)
	v_xor_b32_e32 v18, vcc_hi, v55
	v_xor_b32_e32 v38, vcc_lo, v54
	v_cmp_ne_u32_e32 vcc, 0, v40
	v_and_b32_e32 v18, exec_hi, v18
	v_and_b32_e32 v38, exec_lo, v38
	v_xor_b32_e32 v40, vcc_hi, v147
	v_and_b32_e32 v18, v18, v40
	v_cndmask_b32_e64 v40, 0, 1, s[2:3]
	v_xor_b32_e32 v44, vcc_lo, v146
	v_cmp_ne_u32_e32 vcc, 0, v40
	v_readlane_b32 s2, v254, 23
	v_readlane_b32 s3, v254, 24
	v_xor_b32_e32 v40, vcc_hi, v149
	v_and_b32_e32 v18, v18, v40
	v_cndmask_b32_e64 v40, 0, 1, s[2:3]
	v_and_b32_e32 v38, v38, v44
	v_xor_b32_e32 v44, vcc_lo, v148
	v_cmp_ne_u32_e32 vcc, 0, v40
	v_readlane_b32 s2, v254, 25
	v_readlane_b32 s3, v254, 26
	v_xor_b32_e32 v40, vcc_hi, v151
	v_and_b32_e32 v18, v18, v40
	v_cndmask_b32_e64 v40, 0, 1, s[2:3]
	v_and_b32_e32 v38, v38, v44
	;; [unrolled: 8-line block ×6, first 2 shown]
	v_xor_b32_e32 v44, vcc_lo, v158
	v_cmp_ne_u32_e32 vcc, 0, v40
	v_and_b32_e32 v38, v38, v44
	s_nop 0
	v_xor_b32_e32 v40, vcc_hi, v161
	v_xor_b32_e32 v44, vcc_lo, v160
	v_and_b32_e32 v55, v18, v40
	v_and_b32_e32 v18, v38, v44
	v_mbcnt_lo_u32_b32 v38, v18, 0
	v_mbcnt_hi_u32_b32 v38, v55, v38
	v_cmp_eq_u32_e32 vcc, 0, v38
	s_and_saveexec_b64 s[2:3], vcc
	s_cbranch_execz .LBB17_20
; %bb.19:                               ;   in Loop: Header=BB17_2 Depth=1
	scratch_load_dword v38, off, off offset:308 ; 4-byte Folded Reload
	v_bcnt_u32_b32 v18, v18, 0
	v_bcnt_u32_b32 v18, v55, v18
	s_waitcnt vmcnt(0)
	ds_add_u32 v38, v18
.LBB17_20:                              ;   in Loop: Header=BB17_2 Depth=1
	s_or_b64 exec, exec, s[2:3]
	scratch_load_dwordx2 v[54:55], off, off offset:176 ; 8-byte Folded Reload
	v_readlane_b32 s2, v252, 21
	v_readlane_b32 s3, v252, 22
	s_nop 1
	v_cndmask_b32_e64 v18, 0, 1, s[2:3]
	v_readlane_b32 s2, v254, 35
	v_readlane_b32 s3, v254, 36
	v_cmp_ne_u32_e32 vcc, 0, v18
	s_nop 0
	v_cndmask_b32_e64 v40, 0, 1, s[2:3]
	v_readlane_b32 s2, v254, 37
	v_readlane_b32 s3, v254, 38
	s_waitcnt vmcnt(0)
	v_xor_b32_e32 v18, vcc_hi, v55
	v_xor_b32_e32 v38, vcc_lo, v54
	v_cmp_ne_u32_e32 vcc, 0, v40
	v_and_b32_e32 v18, exec_hi, v18
	v_and_b32_e32 v38, exec_lo, v38
	v_xor_b32_e32 v40, vcc_hi, v163
	v_and_b32_e32 v18, v18, v40
	v_cndmask_b32_e64 v40, 0, 1, s[2:3]
	v_xor_b32_e32 v44, vcc_lo, v162
	v_cmp_ne_u32_e32 vcc, 0, v40
	v_readlane_b32 s2, v254, 39
	v_readlane_b32 s3, v254, 40
	v_xor_b32_e32 v40, vcc_hi, v165
	v_and_b32_e32 v18, v18, v40
	v_cndmask_b32_e64 v40, 0, 1, s[2:3]
	v_and_b32_e32 v38, v38, v44
	v_xor_b32_e32 v44, vcc_lo, v164
	v_cmp_ne_u32_e32 vcc, 0, v40
	v_readlane_b32 s2, v254, 41
	v_readlane_b32 s3, v254, 42
	v_xor_b32_e32 v40, vcc_hi, v167
	v_and_b32_e32 v18, v18, v40
	v_cndmask_b32_e64 v40, 0, 1, s[2:3]
	v_and_b32_e32 v38, v38, v44
	;; [unrolled: 8-line block ×6, first 2 shown]
	v_xor_b32_e32 v44, vcc_lo, v174
	v_cmp_ne_u32_e32 vcc, 0, v40
	v_and_b32_e32 v38, v38, v44
	s_nop 0
	v_xor_b32_e32 v40, vcc_hi, v177
	v_xor_b32_e32 v44, vcc_lo, v176
	v_and_b32_e32 v55, v18, v40
	v_and_b32_e32 v18, v38, v44
	v_mbcnt_lo_u32_b32 v38, v18, 0
	v_mbcnt_hi_u32_b32 v38, v55, v38
	v_cmp_eq_u32_e32 vcc, 0, v38
	s_and_saveexec_b64 s[2:3], vcc
	s_cbranch_execz .LBB17_22
; %bb.21:                               ;   in Loop: Header=BB17_2 Depth=1
	scratch_load_dword v38, off, off offset:312 ; 4-byte Folded Reload
	v_bcnt_u32_b32 v18, v18, 0
	v_bcnt_u32_b32 v18, v55, v18
	s_waitcnt vmcnt(0)
	ds_add_u32 v38, v18
.LBB17_22:                              ;   in Loop: Header=BB17_2 Depth=1
	s_or_b64 exec, exec, s[2:3]
	scratch_load_dwordx2 v[54:55], off, off offset:184 ; 8-byte Folded Reload
	v_readlane_b32 s2, v252, 23
	v_readlane_b32 s3, v252, 24
	s_nop 1
	v_cndmask_b32_e64 v18, 0, 1, s[2:3]
	v_readlane_b32 s2, v254, 51
	v_readlane_b32 s3, v254, 52
	v_cmp_ne_u32_e32 vcc, 0, v18
	s_nop 0
	v_cndmask_b32_e64 v40, 0, 1, s[2:3]
	v_readlane_b32 s2, v254, 53
	v_readlane_b32 s3, v254, 54
	s_waitcnt vmcnt(0)
	v_xor_b32_e32 v18, vcc_hi, v55
	v_xor_b32_e32 v38, vcc_lo, v54
	v_cmp_ne_u32_e32 vcc, 0, v40
	v_and_b32_e32 v18, exec_hi, v18
	v_and_b32_e32 v38, exec_lo, v38
	v_xor_b32_e32 v40, vcc_hi, v179
	v_and_b32_e32 v18, v18, v40
	v_cndmask_b32_e64 v40, 0, 1, s[2:3]
	v_xor_b32_e32 v44, vcc_lo, v178
	v_cmp_ne_u32_e32 vcc, 0, v40
	v_readlane_b32 s2, v254, 55
	v_readlane_b32 s3, v254, 56
	v_xor_b32_e32 v40, vcc_hi, v181
	v_and_b32_e32 v18, v18, v40
	v_cndmask_b32_e64 v40, 0, 1, s[2:3]
	v_and_b32_e32 v38, v38, v44
	v_xor_b32_e32 v44, vcc_lo, v180
	v_cmp_ne_u32_e32 vcc, 0, v40
	v_readlane_b32 s2, v254, 57
	v_readlane_b32 s3, v254, 58
	v_xor_b32_e32 v40, vcc_hi, v183
	v_and_b32_e32 v18, v18, v40
	v_cndmask_b32_e64 v40, 0, 1, s[2:3]
	v_and_b32_e32 v38, v38, v44
	;; [unrolled: 8-line block ×6, first 2 shown]
	v_xor_b32_e32 v44, vcc_lo, v190
	v_cmp_ne_u32_e32 vcc, 0, v40
	v_and_b32_e32 v38, v38, v44
	s_nop 0
	v_xor_b32_e32 v40, vcc_hi, v193
	v_xor_b32_e32 v44, vcc_lo, v192
	v_and_b32_e32 v55, v18, v40
	v_and_b32_e32 v18, v38, v44
	v_mbcnt_lo_u32_b32 v38, v18, 0
	v_mbcnt_hi_u32_b32 v38, v55, v38
	v_cmp_eq_u32_e32 vcc, 0, v38
	s_and_saveexec_b64 s[2:3], vcc
	s_cbranch_execz .LBB17_24
; %bb.23:                               ;   in Loop: Header=BB17_2 Depth=1
	scratch_load_dword v38, off, off offset:316 ; 4-byte Folded Reload
	v_bcnt_u32_b32 v18, v18, 0
	v_bcnt_u32_b32 v18, v55, v18
	s_waitcnt vmcnt(0)
	ds_add_u32 v38, v18
.LBB17_24:                              ;   in Loop: Header=BB17_2 Depth=1
	s_or_b64 exec, exec, s[2:3]
	scratch_load_dwordx2 v[54:55], off, off offset:200 ; 8-byte Folded Reload
	v_readlane_b32 s2, v252, 25
	v_readlane_b32 s3, v252, 26
	s_nop 1
	v_cndmask_b32_e64 v18, 0, 1, s[2:3]
	v_readlane_b32 s2, v255, 3
	v_readlane_b32 s3, v255, 4
	v_cmp_ne_u32_e32 vcc, 0, v18
	s_nop 0
	v_cndmask_b32_e64 v40, 0, 1, s[2:3]
	v_readlane_b32 s2, v255, 5
	v_readlane_b32 s3, v255, 6
	s_waitcnt vmcnt(0)
	v_xor_b32_e32 v18, vcc_hi, v55
	v_xor_b32_e32 v38, vcc_lo, v54
	v_cmp_ne_u32_e32 vcc, 0, v40
	v_and_b32_e32 v18, exec_hi, v18
	v_and_b32_e32 v38, exec_lo, v38
	v_xor_b32_e32 v40, vcc_hi, v195
	v_and_b32_e32 v18, v18, v40
	v_cndmask_b32_e64 v40, 0, 1, s[2:3]
	v_xor_b32_e32 v44, vcc_lo, v194
	v_cmp_ne_u32_e32 vcc, 0, v40
	v_and_b32_e32 v38, v38, v44
	s_nop 0
	v_xor_b32_e32 v40, vcc_hi, v197
	v_and_b32_e32 v18, v18, v40
	v_cndmask_b32_e64 v40, 0, 1, s[96:97]
	v_xor_b32_e32 v44, vcc_lo, v196
	v_cmp_ne_u32_e32 vcc, 0, v40
	v_and_b32_e32 v38, v38, v44
	s_nop 0
	;; [unrolled: 7-line block ×7, first 2 shown]
	v_xor_b32_e32 v40, vcc_hi, v209
	v_xor_b32_e32 v44, vcc_lo, v208
	v_and_b32_e32 v55, v18, v40
	v_and_b32_e32 v18, v38, v44
	v_mbcnt_lo_u32_b32 v38, v18, 0
	v_mbcnt_hi_u32_b32 v38, v55, v38
	v_cmp_eq_u32_e32 vcc, 0, v38
	s_and_saveexec_b64 s[2:3], vcc
	s_cbranch_execz .LBB17_26
; %bb.25:                               ;   in Loop: Header=BB17_2 Depth=1
	scratch_load_dword v38, off, off offset:320 ; 4-byte Folded Reload
	v_bcnt_u32_b32 v18, v18, 0
	v_bcnt_u32_b32 v18, v55, v18
	s_waitcnt vmcnt(0)
	ds_add_u32 v38, v18
.LBB17_26:                              ;   in Loop: Header=BB17_2 Depth=1
	s_or_b64 exec, exec, s[2:3]
	v_readlane_b32 s2, v252, 27
	v_readlane_b32 s3, v252, 28
	v_cndmask_b32_e64 v40, 0, 1, s[8:9]
	s_nop 0
	v_cndmask_b32_e64 v18, 0, 1, s[2:3]
	v_cmp_ne_u32_e32 vcc, 0, v18
	s_nop 1
	v_xor_b32_e32 v18, vcc_hi, v15
	v_xor_b32_e32 v38, vcc_lo, v14
	v_cmp_ne_u32_e32 vcc, 0, v40
	v_and_b32_e32 v18, exec_hi, v18
	v_and_b32_e32 v38, exec_lo, v38
	v_xor_b32_e32 v40, vcc_hi, v211
	v_and_b32_e32 v18, v18, v40
	v_cndmask_b32_e64 v40, 0, 1, s[10:11]
	v_xor_b32_e32 v44, vcc_lo, v210
	v_cmp_ne_u32_e32 vcc, 0, v40
	v_and_b32_e32 v38, v38, v44
	s_nop 0
	v_xor_b32_e32 v40, vcc_hi, v213
	v_and_b32_e32 v18, v18, v40
	v_cndmask_b32_e64 v40, 0, 1, s[12:13]
	v_xor_b32_e32 v44, vcc_lo, v212
	v_cmp_ne_u32_e32 vcc, 0, v40
	v_and_b32_e32 v38, v38, v44
	s_nop 0
	;; [unrolled: 7-line block ×7, first 2 shown]
	v_xor_b32_e32 v40, vcc_hi, v225
	v_xor_b32_e32 v44, vcc_lo, v224
	v_and_b32_e32 v55, v18, v40
	v_and_b32_e32 v18, v38, v44
	v_mbcnt_lo_u32_b32 v38, v18, 0
	v_mbcnt_hi_u32_b32 v38, v55, v38
	v_cmp_eq_u32_e32 vcc, 0, v38
	s_and_saveexec_b64 s[2:3], vcc
	s_cbranch_execz .LBB17_28
; %bb.27:                               ;   in Loop: Header=BB17_2 Depth=1
	scratch_load_dword v38, off, off offset:324 ; 4-byte Folded Reload
	v_bcnt_u32_b32 v18, v18, 0
	v_bcnt_u32_b32 v18, v55, v18
	s_waitcnt vmcnt(0)
	ds_add_u32 v38, v18
.LBB17_28:                              ;   in Loop: Header=BB17_2 Depth=1
	s_or_b64 exec, exec, s[2:3]
	v_readlane_b32 s2, v252, 29
	v_readlane_b32 s3, v252, 30
	v_cndmask_b32_e64 v40, 0, 1, s[24:25]
	s_nop 0
	v_cndmask_b32_e64 v18, 0, 1, s[2:3]
	v_cmp_ne_u32_e32 vcc, 0, v18
	s_nop 1
	v_xor_b32_e32 v18, vcc_hi, v17
	v_xor_b32_e32 v38, vcc_lo, v16
	v_cmp_ne_u32_e32 vcc, 0, v40
	v_and_b32_e32 v18, exec_hi, v18
	v_and_b32_e32 v38, exec_lo, v38
	v_xor_b32_e32 v40, vcc_hi, v227
	v_and_b32_e32 v18, v18, v40
	v_cndmask_b32_e64 v40, 0, 1, s[26:27]
	v_xor_b32_e32 v44, vcc_lo, v226
	v_cmp_ne_u32_e32 vcc, 0, v40
	v_and_b32_e32 v38, v38, v44
	s_nop 0
	v_xor_b32_e32 v40, vcc_hi, v229
	v_and_b32_e32 v18, v18, v40
	v_cndmask_b32_e64 v40, 0, 1, s[28:29]
	v_xor_b32_e32 v44, vcc_lo, v228
	v_cmp_ne_u32_e32 vcc, 0, v40
	v_and_b32_e32 v38, v38, v44
	s_nop 0
	v_xor_b32_e32 v40, vcc_hi, v231
	v_and_b32_e32 v18, v18, v40
	v_cndmask_b32_e64 v40, 0, 1, s[30:31]
	v_xor_b32_e32 v44, vcc_lo, v230
	v_cmp_ne_u32_e32 vcc, 0, v40
	v_and_b32_e32 v38, v38, v44
	s_nop 0
	v_xor_b32_e32 v40, vcc_hi, v233
	v_and_b32_e32 v18, v18, v40
	v_cndmask_b32_e64 v40, 0, 1, s[34:35]
	v_xor_b32_e32 v44, vcc_lo, v232
	v_cmp_ne_u32_e32 vcc, 0, v40
	v_and_b32_e32 v38, v38, v44
	s_nop 0
	v_xor_b32_e32 v40, vcc_hi, v235
	v_and_b32_e32 v18, v18, v40
	v_cndmask_b32_e64 v40, 0, 1, s[36:37]
	v_xor_b32_e32 v44, vcc_lo, v234
	v_cmp_ne_u32_e32 vcc, 0, v40
	v_and_b32_e32 v38, v38, v44
	s_nop 0
	v_xor_b32_e32 v40, vcc_hi, v237
	v_and_b32_e32 v18, v18, v40
	v_cndmask_b32_e64 v40, 0, 1, s[38:39]
	v_xor_b32_e32 v44, vcc_lo, v236
	v_cmp_ne_u32_e32 vcc, 0, v40
	v_and_b32_e32 v38, v38, v44
	s_nop 0
	v_xor_b32_e32 v40, vcc_hi, v239
	v_and_b32_e32 v18, v18, v40
	v_cndmask_b32_e64 v40, 0, 1, s[40:41]
	v_xor_b32_e32 v44, vcc_lo, v238
	v_cmp_ne_u32_e32 vcc, 0, v40
	v_and_b32_e32 v38, v38, v44
	s_nop 0
	v_xor_b32_e32 v40, vcc_hi, v241
	v_xor_b32_e32 v44, vcc_lo, v240
	v_and_b32_e32 v55, v18, v40
	v_and_b32_e32 v18, v38, v44
	v_mbcnt_lo_u32_b32 v38, v18, 0
	v_mbcnt_hi_u32_b32 v38, v55, v38
	v_cmp_eq_u32_e32 vcc, 0, v38
	s_and_saveexec_b64 s[2:3], vcc
	s_cbranch_execz .LBB17_30
; %bb.29:                               ;   in Loop: Header=BB17_2 Depth=1
	scratch_load_dword v38, off, off offset:328 ; 4-byte Folded Reload
	v_bcnt_u32_b32 v18, v18, 0
	v_bcnt_u32_b32 v18, v55, v18
	s_waitcnt vmcnt(0)
	ds_add_u32 v38, v18
.LBB17_30:                              ;   in Loop: Header=BB17_2 Depth=1
	s_or_b64 exec, exec, s[2:3]
	v_readlane_b32 s2, v252, 31
	v_readlane_b32 s3, v252, 32
	v_cndmask_b32_e64 v40, 0, 1, s[42:43]
	s_nop 0
	v_cndmask_b32_e64 v18, 0, 1, s[2:3]
	v_cmp_ne_u32_e32 vcc, 0, v18
	s_nop 1
	v_xor_b32_e32 v18, vcc_hi, v35
	v_xor_b32_e32 v38, vcc_lo, v34
	v_cmp_ne_u32_e32 vcc, 0, v40
	v_and_b32_e32 v18, exec_hi, v18
	v_and_b32_e32 v38, exec_lo, v38
	v_xor_b32_e32 v40, vcc_hi, v243
	v_and_b32_e32 v18, v18, v40
	v_cndmask_b32_e64 v40, 0, 1, s[44:45]
	v_xor_b32_e32 v44, vcc_lo, v242
	v_cmp_ne_u32_e32 vcc, 0, v40
	v_and_b32_e32 v38, v38, v44
	s_nop 0
	v_xor_b32_e32 v40, vcc_hi, v245
	v_and_b32_e32 v18, v18, v40
	v_cndmask_b32_e64 v40, 0, 1, s[46:47]
	v_xor_b32_e32 v44, vcc_lo, v244
	v_cmp_ne_u32_e32 vcc, 0, v40
	v_and_b32_e32 v38, v38, v44
	s_nop 0
	v_xor_b32_e32 v40, vcc_hi, v247
	v_and_b32_e32 v18, v18, v40
	v_cndmask_b32_e64 v40, 0, 1, s[48:49]
	v_xor_b32_e32 v44, vcc_lo, v246
	v_cmp_ne_u32_e32 vcc, 0, v40
	v_and_b32_e32 v38, v38, v44
	s_nop 0
	v_xor_b32_e32 v40, vcc_hi, v249
	v_and_b32_e32 v18, v18, v40
	v_cndmask_b32_e64 v40, 0, 1, s[50:51]
	v_xor_b32_e32 v44, vcc_lo, v248
	v_cmp_ne_u32_e32 vcc, 0, v40
	v_and_b32_e32 v38, v38, v44
	s_nop 0
	v_xor_b32_e32 v40, vcc_hi, v251
	v_and_b32_e32 v18, v18, v40
	v_cndmask_b32_e64 v40, 0, 1, s[52:53]
	v_xor_b32_e32 v44, vcc_lo, v250
	v_cmp_ne_u32_e32 vcc, 0, v40
	v_and_b32_e32 v38, v38, v44
	s_nop 0
	v_xor_b32_e32 v40, vcc_hi, v1
	v_and_b32_e32 v18, v18, v40
	v_cndmask_b32_e64 v40, 0, 1, s[54:55]
	v_xor_b32_e32 v44, vcc_lo, v2
	v_cmp_ne_u32_e32 vcc, 0, v40
	v_and_b32_e32 v38, v38, v44
	v_mov_b32_e32 v44, v70
	v_xor_b32_e32 v40, vcc_hi, v21
	v_and_b32_e32 v18, v18, v40
	v_cndmask_b32_e64 v40, 0, 1, s[56:57]
	v_xor_b32_e32 v44, vcc_lo, v44
	v_cmp_ne_u32_e32 vcc, 0, v40
	v_and_b32_e32 v38, v38, v44
	s_nop 0
	v_xor_b32_e32 v40, vcc_hi, v3
	v_xor_b32_e32 v44, vcc_lo, v4
	v_and_b32_e32 v55, v18, v40
	v_and_b32_e32 v18, v38, v44
	v_mbcnt_lo_u32_b32 v38, v18, 0
	v_mbcnt_hi_u32_b32 v38, v55, v38
	v_cmp_eq_u32_e32 vcc, 0, v38
	s_and_saveexec_b64 s[2:3], vcc
	s_cbranch_execz .LBB17_32
; %bb.31:                               ;   in Loop: Header=BB17_2 Depth=1
	scratch_load_dword v38, off, off offset:332 ; 4-byte Folded Reload
	v_bcnt_u32_b32 v18, v18, 0
	v_bcnt_u32_b32 v18, v55, v18
	s_waitcnt vmcnt(0)
	ds_add_u32 v38, v18
.LBB17_32:                              ;   in Loop: Header=BB17_2 Depth=1
	s_or_b64 exec, exec, s[2:3]
	v_readlane_b32 s2, v252, 33
	v_readlane_b32 s3, v252, 34
	v_cndmask_b32_e64 v40, 0, 1, s[58:59]
	s_nop 0
	v_cndmask_b32_e64 v18, 0, 1, s[2:3]
	v_cmp_ne_u32_e32 vcc, 0, v18
	s_nop 1
	v_xor_b32_e32 v18, vcc_hi, v37
	v_xor_b32_e32 v38, vcc_lo, v36
	v_cmp_ne_u32_e32 vcc, 0, v40
	v_and_b32_e32 v18, exec_hi, v18
	v_and_b32_e32 v38, exec_lo, v38
	v_xor_b32_e32 v40, vcc_hi, v23
	v_and_b32_e32 v18, v18, v40
	v_cndmask_b32_e64 v40, 0, 1, s[60:61]
	v_xor_b32_e32 v44, vcc_lo, v10
	v_cmp_ne_u32_e32 vcc, 0, v40
	v_and_b32_e32 v38, v38, v44
	s_nop 0
	v_xor_b32_e32 v40, vcc_hi, v5
	v_and_b32_e32 v18, v18, v40
	v_cndmask_b32_e64 v40, 0, 1, s[62:63]
	v_xor_b32_e32 v44, vcc_lo, v6
	v_cmp_ne_u32_e32 vcc, 0, v40
	v_and_b32_e32 v38, v38, v44
	s_nop 0
	;; [unrolled: 7-line block ×7, first 2 shown]
	v_xor_b32_e32 v40, vcc_hi, v41
	v_xor_b32_e32 v44, vcc_lo, v26
	v_and_b32_e32 v55, v18, v40
	v_and_b32_e32 v18, v38, v44
	v_mbcnt_lo_u32_b32 v38, v18, 0
	v_mbcnt_hi_u32_b32 v38, v55, v38
	v_cmp_eq_u32_e32 vcc, 0, v38
	s_and_saveexec_b64 s[2:3], vcc
	s_cbranch_execz .LBB17_34
; %bb.33:                               ;   in Loop: Header=BB17_2 Depth=1
	scratch_load_dword v38, off, off offset:336 ; 4-byte Folded Reload
	v_bcnt_u32_b32 v18, v18, 0
	v_bcnt_u32_b32 v18, v55, v18
	s_waitcnt vmcnt(0)
	ds_add_u32 v38, v18
.LBB17_34:                              ;   in Loop: Header=BB17_2 Depth=1
	s_or_b64 exec, exec, s[2:3]
	v_cndmask_b32_e64 v18, 0, 1, s[90:91]
	v_cmp_ne_u32_e32 vcc, 0, v18
	v_cndmask_b32_e64 v40, 0, 1, s[74:75]
	v_mov_b32_e32 v28, v84
	v_xor_b32_e32 v18, vcc_hi, v43
	v_xor_b32_e32 v38, vcc_lo, v42
	v_cmp_ne_u32_e32 vcc, 0, v40
	v_and_b32_e32 v18, exec_hi, v18
	v_and_b32_e32 v38, exec_lo, v38
	v_xor_b32_e32 v40, vcc_hi, v45
	v_and_b32_e32 v18, v18, v40
	v_cndmask_b32_e64 v40, 0, 1, s[76:77]
	v_xor_b32_e32 v44, vcc_lo, v0
	v_cmp_ne_u32_e32 vcc, 0, v40
	v_and_b32_e32 v38, v38, v44
	v_mov_b32_e32 v44, v82
	v_xor_b32_e32 v40, vcc_hi, v27
	v_and_b32_e32 v18, v18, v40
	v_cndmask_b32_e64 v40, 0, 1, s[78:79]
	v_xor_b32_e32 v44, vcc_lo, v44
	v_cmp_ne_u32_e32 vcc, 0, v40
	v_and_b32_e32 v38, v38, v44
	s_nop 0
	v_xor_b32_e32 v40, vcc_hi, v47
	v_and_b32_e32 v18, v18, v40
	v_cndmask_b32_e64 v40, 0, 1, s[80:81]
	v_xor_b32_e32 v44, vcc_lo, v28
	v_cmp_ne_u32_e32 vcc, 0, v40
	v_mov_b32_e32 v28, v86
	v_and_b32_e32 v38, v38, v44
	v_xor_b32_e32 v40, vcc_hi, v49
	v_and_b32_e32 v18, v18, v40
	v_cndmask_b32_e64 v40, 0, 1, s[82:83]
	v_xor_b32_e32 v44, vcc_lo, v28
	v_cmp_ne_u32_e32 vcc, 0, v40
	v_mov_b32_e32 v28, v52
	v_and_b32_e32 v38, v38, v44
	;; [unrolled: 7-line block ×5, first 2 shown]
	v_xor_b32_e32 v40, vcc_hi, v53
	v_xor_b32_e32 v44, vcc_lo, v28
	v_and_b32_e32 v55, v18, v40
	v_and_b32_e32 v18, v38, v44
	v_mbcnt_lo_u32_b32 v38, v18, 0
	v_mbcnt_hi_u32_b32 v38, v55, v38
	v_cmp_eq_u32_e32 vcc, 0, v38
	s_and_saveexec_b64 s[2:3], vcc
	s_cbranch_execz .LBB17_1
; %bb.35:                               ;   in Loop: Header=BB17_2 Depth=1
	scratch_load_dword v38, off, off offset:340 ; 4-byte Folded Reload
	v_bcnt_u32_b32 v18, v18, 0
	v_bcnt_u32_b32 v18, v55, v18
	s_waitcnt vmcnt(0)
	ds_add_u32 v38, v18
	s_branch .LBB17_1
.LBB17_36:
	s_and_saveexec_b64 s[0:1], s[94:95]
	s_cbranch_execz .LBB17_38
; %bb.37:
	scratch_load_dword v1, off, off offset:296 ; 4-byte Folded Reload
	scratch_load_dword v2, off, off offset:348 ; 4-byte Folded Reload
	v_readlane_b32 s0, v252, 0
	v_readlane_b32 s2, v252, 2
	v_readlane_b32 s3, v252, 3
	v_readlane_b32 s0, v252, 4
	v_mov_b32_e32 v0, s2
	v_mov_b32_e32 v3, 0
	v_readlane_b32 s1, v252, 1
	s_waitcnt vmcnt(1)
	ds_read_b32 v4, v1
	v_mov_b32_e32 v1, s3
	s_waitcnt vmcnt(0)
	v_lshl_or_b32 v2, s0, 9, v2
	v_lshl_add_u64 v[0:1], v[2:3], 2, v[0:1]
	s_waitcnt lgkmcnt(0)
	global_store_dword v[0:1], v4, off
.LBB17_38:
	s_endpgm
	.section	.rodata,"a",@progbits
	.p2align	6, 0x0
	.amdhsa_kernel _Z6kernelI9histogramILN6hipcub23BlockHistogramAlgorithmE0EEiLj512ELj16ELj512ELj100EEvPKT0_PS4_
		.amdhsa_group_segment_fixed_size 2048
		.amdhsa_private_segment_fixed_size 420
		.amdhsa_kernarg_size 16
		.amdhsa_user_sgpr_count 2
		.amdhsa_user_sgpr_dispatch_ptr 0
		.amdhsa_user_sgpr_queue_ptr 0
		.amdhsa_user_sgpr_kernarg_segment_ptr 1
		.amdhsa_user_sgpr_dispatch_id 0
		.amdhsa_user_sgpr_kernarg_preload_length 0
		.amdhsa_user_sgpr_kernarg_preload_offset 0
		.amdhsa_user_sgpr_private_segment_size 0
		.amdhsa_uses_dynamic_stack 0
		.amdhsa_enable_private_segment 1
		.amdhsa_system_sgpr_workgroup_id_x 1
		.amdhsa_system_sgpr_workgroup_id_y 0
		.amdhsa_system_sgpr_workgroup_id_z 0
		.amdhsa_system_sgpr_workgroup_info 0
		.amdhsa_system_vgpr_workitem_id 0
		.amdhsa_next_free_vgpr 256
		.amdhsa_next_free_sgpr 100
		.amdhsa_accum_offset 256
		.amdhsa_reserve_vcc 1
		.amdhsa_float_round_mode_32 0
		.amdhsa_float_round_mode_16_64 0
		.amdhsa_float_denorm_mode_32 3
		.amdhsa_float_denorm_mode_16_64 3
		.amdhsa_dx10_clamp 1
		.amdhsa_ieee_mode 1
		.amdhsa_fp16_overflow 0
		.amdhsa_tg_split 0
		.amdhsa_exception_fp_ieee_invalid_op 0
		.amdhsa_exception_fp_denorm_src 0
		.amdhsa_exception_fp_ieee_div_zero 0
		.amdhsa_exception_fp_ieee_overflow 0
		.amdhsa_exception_fp_ieee_underflow 0
		.amdhsa_exception_fp_ieee_inexact 0
		.amdhsa_exception_int_div_zero 0
	.end_amdhsa_kernel
	.section	.text._Z6kernelI9histogramILN6hipcub23BlockHistogramAlgorithmE0EEiLj512ELj16ELj512ELj100EEvPKT0_PS4_,"axG",@progbits,_Z6kernelI9histogramILN6hipcub23BlockHistogramAlgorithmE0EEiLj512ELj16ELj512ELj100EEvPKT0_PS4_,comdat
.Lfunc_end17:
	.size	_Z6kernelI9histogramILN6hipcub23BlockHistogramAlgorithmE0EEiLj512ELj16ELj512ELj100EEvPKT0_PS4_, .Lfunc_end17-_Z6kernelI9histogramILN6hipcub23BlockHistogramAlgorithmE0EEiLj512ELj16ELj512ELj100EEvPKT0_PS4_
                                        ; -- End function
	.section	.AMDGPU.csdata,"",@progbits
; Kernel info:
; codeLenInByte = 14364
; NumSgprs: 106
; NumVgprs: 256
; NumAgprs: 0
; TotalNumVgprs: 256
; ScratchSize: 420
; MemoryBound: 0
; FloatMode: 240
; IeeeMode: 1
; LDSByteSize: 2048 bytes/workgroup (compile time only)
; SGPRBlocks: 13
; VGPRBlocks: 31
; NumSGPRsForWavesPerEU: 106
; NumVGPRsForWavesPerEU: 256
; AccumOffset: 256
; Occupancy: 2
; WaveLimiterHint : 0
; COMPUTE_PGM_RSRC2:SCRATCH_EN: 1
; COMPUTE_PGM_RSRC2:USER_SGPR: 2
; COMPUTE_PGM_RSRC2:TRAP_HANDLER: 0
; COMPUTE_PGM_RSRC2:TGID_X_EN: 1
; COMPUTE_PGM_RSRC2:TGID_Y_EN: 0
; COMPUTE_PGM_RSRC2:TGID_Z_EN: 0
; COMPUTE_PGM_RSRC2:TIDIG_COMP_CNT: 0
; COMPUTE_PGM_RSRC3_GFX90A:ACCUM_OFFSET: 63
; COMPUTE_PGM_RSRC3_GFX90A:TG_SPLIT: 0
	.section	.text._Z6kernelI9histogramILN6hipcub23BlockHistogramAlgorithmE0EEyLj256ELj1ELj256ELj100EEvPKT0_PS4_,"axG",@progbits,_Z6kernelI9histogramILN6hipcub23BlockHistogramAlgorithmE0EEyLj256ELj1ELj256ELj100EEvPKT0_PS4_,comdat
	.protected	_Z6kernelI9histogramILN6hipcub23BlockHistogramAlgorithmE0EEyLj256ELj1ELj256ELj100EEvPKT0_PS4_ ; -- Begin function _Z6kernelI9histogramILN6hipcub23BlockHistogramAlgorithmE0EEyLj256ELj1ELj256ELj100EEvPKT0_PS4_
	.globl	_Z6kernelI9histogramILN6hipcub23BlockHistogramAlgorithmE0EEyLj256ELj1ELj256ELj100EEvPKT0_PS4_
	.p2align	8
	.type	_Z6kernelI9histogramILN6hipcub23BlockHistogramAlgorithmE0EEyLj256ELj1ELj256ELj100EEvPKT0_PS4_,@function
_Z6kernelI9histogramILN6hipcub23BlockHistogramAlgorithmE0EEyLj256ELj1ELj256ELj100EEvPKT0_PS4_: ; @_Z6kernelI9histogramILN6hipcub23BlockHistogramAlgorithmE0EEyLj256ELj1ELj256ELj100EEvPKT0_PS4_
; %bb.0:
	s_load_dwordx4 s[4:7], s[0:1], 0x0
	s_lshl_b32 s0, s2, 8
	v_mov_b32_e32 v4, 0
	v_or_b32_e32 v2, s0, v0
	v_mov_b32_e32 v3, v4
	s_waitcnt lgkmcnt(0)
	v_mov_b32_e32 v6, s4
	v_mov_b32_e32 v7, s5
	v_lshl_add_u64 v[6:7], v[2:3], 3, v[6:7]
	global_load_dwordx2 v[16:17], v[6:7], off
	s_movk_i32 s0, 0x100
	v_cmp_gt_u32_e32 vcc, s0, v0
	v_mov_b32_e32 v7, v4
	v_lshlrev_b32_e32 v19, 3, v0
	s_movk_i32 s4, 0x64
	s_waitcnt vmcnt(0)
	v_lshlrev_b32_e32 v5, 30, v16
	v_and_b32_e32 v6, 1, v16
	v_cmp_gt_i64_e64 s[0:1], 0, v[4:5]
	v_not_b32_e32 v3, v5
	v_lshlrev_b32_e32 v5, 29, v16
	v_lshl_add_u64 v[0:1], v[6:7], 0, -1
	v_cndmask_b32_e64 v23, 0, 1, s[0:1]
	v_not_b32_e32 v7, v5
	v_cmp_gt_i64_e64 s[0:1], 0, v[4:5]
	v_lshlrev_b32_e32 v5, 28, v16
	v_not_b32_e32 v9, v5
	v_cndmask_b32_e64 v24, 0, 1, s[0:1]
	v_cmp_gt_i64_e64 s[0:1], 0, v[4:5]
	v_lshlrev_b32_e32 v5, 27, v16
	v_not_b32_e32 v11, v5
	v_cndmask_b32_e64 v25, 0, 1, s[0:1]
	;; [unrolled: 4-line block ×4, first 2 shown]
	v_cmp_gt_i64_e64 s[0:1], 0, v[4:5]
	v_lshlrev_b32_e32 v5, 24, v16
	v_not_b32_e32 v17, v5
	v_lshlrev_b32_e32 v21, 3, v16
	v_cmp_eq_u32_e64 s[2:3], 1, v6
	v_ashrrev_i32_e32 v6, 31, v3
	v_ashrrev_i32_e32 v8, 31, v7
	;; [unrolled: 1-line block ×5, first 2 shown]
	v_cndmask_b32_e64 v28, 0, 1, s[0:1]
	v_ashrrev_i32_e32 v16, 31, v15
	v_ashrrev_i32_e32 v18, 31, v17
	v_cmp_gt_i64_e64 s[0:1], 0, v[4:5]
	v_cndmask_b32_e64 v22, 0, 1, s[2:3]
	v_mov_b32_e32 v3, v6
	v_mov_b32_e32 v7, v8
	;; [unrolled: 1-line block ×7, first 2 shown]
	v_cndmask_b32_e64 v29, 0, 1, s[0:1]
	s_branch .LBB18_2
.LBB18_1:                               ;   in Loop: Header=BB18_2 Depth=1
	s_or_b64 exec, exec, s[2:3]
	s_add_i32 s4, s4, -1
	s_cmp_eq_u32 s4, 0
	s_waitcnt lgkmcnt(0)
	s_barrier
	s_cbranch_scc1 .LBB18_6
.LBB18_2:                               ; =>This Inner Loop Header: Depth=1
	s_and_saveexec_b64 s[0:1], vcc
	s_cbranch_execz .LBB18_4
; %bb.3:                                ;   in Loop: Header=BB18_2 Depth=1
	v_mov_b32_e32 v5, v4
	ds_write_b64 v19, v[4:5]
.LBB18_4:                               ;   in Loop: Header=BB18_2 Depth=1
	s_or_b64 exec, exec, s[0:1]
	v_cmp_ne_u32_e64 s[0:1], 0, v22
	s_waitcnt lgkmcnt(0)
	s_barrier
	v_xor_b32_e32 v5, s1, v1
	v_xor_b32_e32 v20, s0, v0
	v_cmp_ne_u32_e64 s[0:1], 0, v23
	v_and_b32_e32 v5, exec_hi, v5
	v_and_b32_e32 v20, exec_lo, v20
	v_xor_b32_e32 v30, s1, v3
	v_xor_b32_e32 v31, s0, v6
	v_cmp_ne_u32_e64 s[0:1], 0, v24
	v_and_b32_e32 v5, v5, v30
	v_and_b32_e32 v20, v20, v31
	v_xor_b32_e32 v30, s1, v7
	v_xor_b32_e32 v31, s0, v8
	v_cmp_ne_u32_e64 s[0:1], 0, v25
	v_and_b32_e32 v5, v5, v30
	v_and_b32_e32 v20, v20, v31
	v_xor_b32_e32 v30, s1, v9
	v_xor_b32_e32 v31, s0, v10
	v_cmp_ne_u32_e64 s[0:1], 0, v26
	v_and_b32_e32 v5, v5, v30
	v_and_b32_e32 v20, v20, v31
	v_xor_b32_e32 v30, s1, v11
	v_xor_b32_e32 v31, s0, v12
	v_cmp_ne_u32_e64 s[0:1], 0, v27
	v_and_b32_e32 v5, v5, v30
	v_and_b32_e32 v20, v20, v31
	v_xor_b32_e32 v30, s1, v13
	v_xor_b32_e32 v31, s0, v14
	v_cmp_ne_u32_e64 s[0:1], 0, v28
	v_and_b32_e32 v5, v5, v30
	v_and_b32_e32 v20, v20, v31
	v_xor_b32_e32 v30, s1, v15
	v_xor_b32_e32 v31, s0, v16
	v_cmp_ne_u32_e64 s[0:1], 0, v29
	v_and_b32_e32 v20, v20, v31
	v_and_b32_e32 v5, v5, v30
	v_xor_b32_e32 v31, s0, v18
	v_xor_b32_e32 v30, s1, v17
	v_and_b32_e32 v20, v20, v31
	v_and_b32_e32 v5, v5, v30
	v_mbcnt_lo_u32_b32 v30, v20, 0
	v_mbcnt_hi_u32_b32 v30, v5, v30
	v_cmp_eq_u32_e64 s[0:1], 0, v30
	s_and_saveexec_b64 s[2:3], s[0:1]
	s_cbranch_execz .LBB18_1
; %bb.5:                                ;   in Loop: Header=BB18_2 Depth=1
	v_bcnt_u32_b32 v20, v20, 0
	v_bcnt_u32_b32 v30, v5, v20
	v_mov_b32_e32 v31, v4
	ds_add_u64 v21, v[30:31]
	s_branch .LBB18_1
.LBB18_6:
	s_and_saveexec_b64 s[0:1], vcc
	s_cbranch_execz .LBB18_8
; %bb.7:
	ds_read_b64 v[0:1], v19
	v_mov_b32_e32 v4, s6
	v_mov_b32_e32 v5, s7
	;; [unrolled: 1-line block ×3, first 2 shown]
	v_lshl_add_u64 v[2:3], v[2:3], 3, v[4:5]
	s_waitcnt lgkmcnt(0)
	global_store_dwordx2 v[2:3], v[0:1], off
.LBB18_8:
	s_endpgm
	.section	.rodata,"a",@progbits
	.p2align	6, 0x0
	.amdhsa_kernel _Z6kernelI9histogramILN6hipcub23BlockHistogramAlgorithmE0EEyLj256ELj1ELj256ELj100EEvPKT0_PS4_
		.amdhsa_group_segment_fixed_size 2048
		.amdhsa_private_segment_fixed_size 0
		.amdhsa_kernarg_size 16
		.amdhsa_user_sgpr_count 2
		.amdhsa_user_sgpr_dispatch_ptr 0
		.amdhsa_user_sgpr_queue_ptr 0
		.amdhsa_user_sgpr_kernarg_segment_ptr 1
		.amdhsa_user_sgpr_dispatch_id 0
		.amdhsa_user_sgpr_kernarg_preload_length 0
		.amdhsa_user_sgpr_kernarg_preload_offset 0
		.amdhsa_user_sgpr_private_segment_size 0
		.amdhsa_uses_dynamic_stack 0
		.amdhsa_enable_private_segment 0
		.amdhsa_system_sgpr_workgroup_id_x 1
		.amdhsa_system_sgpr_workgroup_id_y 0
		.amdhsa_system_sgpr_workgroup_id_z 0
		.amdhsa_system_sgpr_workgroup_info 0
		.amdhsa_system_vgpr_workitem_id 0
		.amdhsa_next_free_vgpr 32
		.amdhsa_next_free_sgpr 8
		.amdhsa_accum_offset 32
		.amdhsa_reserve_vcc 1
		.amdhsa_float_round_mode_32 0
		.amdhsa_float_round_mode_16_64 0
		.amdhsa_float_denorm_mode_32 3
		.amdhsa_float_denorm_mode_16_64 3
		.amdhsa_dx10_clamp 1
		.amdhsa_ieee_mode 1
		.amdhsa_fp16_overflow 0
		.amdhsa_tg_split 0
		.amdhsa_exception_fp_ieee_invalid_op 0
		.amdhsa_exception_fp_denorm_src 0
		.amdhsa_exception_fp_ieee_div_zero 0
		.amdhsa_exception_fp_ieee_overflow 0
		.amdhsa_exception_fp_ieee_underflow 0
		.amdhsa_exception_fp_ieee_inexact 0
		.amdhsa_exception_int_div_zero 0
	.end_amdhsa_kernel
	.section	.text._Z6kernelI9histogramILN6hipcub23BlockHistogramAlgorithmE0EEyLj256ELj1ELj256ELj100EEvPKT0_PS4_,"axG",@progbits,_Z6kernelI9histogramILN6hipcub23BlockHistogramAlgorithmE0EEyLj256ELj1ELj256ELj100EEvPKT0_PS4_,comdat
.Lfunc_end18:
	.size	_Z6kernelI9histogramILN6hipcub23BlockHistogramAlgorithmE0EEyLj256ELj1ELj256ELj100EEvPKT0_PS4_, .Lfunc_end18-_Z6kernelI9histogramILN6hipcub23BlockHistogramAlgorithmE0EEyLj256ELj1ELj256ELj100EEvPKT0_PS4_
                                        ; -- End function
	.section	.AMDGPU.csdata,"",@progbits
; Kernel info:
; codeLenInByte = 700
; NumSgprs: 14
; NumVgprs: 32
; NumAgprs: 0
; TotalNumVgprs: 32
; ScratchSize: 0
; MemoryBound: 0
; FloatMode: 240
; IeeeMode: 1
; LDSByteSize: 2048 bytes/workgroup (compile time only)
; SGPRBlocks: 1
; VGPRBlocks: 3
; NumSGPRsForWavesPerEU: 14
; NumVGPRsForWavesPerEU: 32
; AccumOffset: 32
; Occupancy: 8
; WaveLimiterHint : 0
; COMPUTE_PGM_RSRC2:SCRATCH_EN: 0
; COMPUTE_PGM_RSRC2:USER_SGPR: 2
; COMPUTE_PGM_RSRC2:TRAP_HANDLER: 0
; COMPUTE_PGM_RSRC2:TGID_X_EN: 1
; COMPUTE_PGM_RSRC2:TGID_Y_EN: 0
; COMPUTE_PGM_RSRC2:TGID_Z_EN: 0
; COMPUTE_PGM_RSRC2:TIDIG_COMP_CNT: 0
; COMPUTE_PGM_RSRC3_GFX90A:ACCUM_OFFSET: 7
; COMPUTE_PGM_RSRC3_GFX90A:TG_SPLIT: 0
	.section	.text._Z6kernelI9histogramILN6hipcub23BlockHistogramAlgorithmE0EEyLj256ELj2ELj256ELj100EEvPKT0_PS4_,"axG",@progbits,_Z6kernelI9histogramILN6hipcub23BlockHistogramAlgorithmE0EEyLj256ELj2ELj256ELj100EEvPKT0_PS4_,comdat
	.protected	_Z6kernelI9histogramILN6hipcub23BlockHistogramAlgorithmE0EEyLj256ELj2ELj256ELj100EEvPKT0_PS4_ ; -- Begin function _Z6kernelI9histogramILN6hipcub23BlockHistogramAlgorithmE0EEyLj256ELj2ELj256ELj100EEvPKT0_PS4_
	.globl	_Z6kernelI9histogramILN6hipcub23BlockHistogramAlgorithmE0EEyLj256ELj2ELj256ELj100EEvPKT0_PS4_
	.p2align	8
	.type	_Z6kernelI9histogramILN6hipcub23BlockHistogramAlgorithmE0EEyLj256ELj2ELj256ELj100EEvPKT0_PS4_,@function
_Z6kernelI9histogramILN6hipcub23BlockHistogramAlgorithmE0EEyLj256ELj2ELj256ELj100EEvPKT0_PS4_: ; @_Z6kernelI9histogramILN6hipcub23BlockHistogramAlgorithmE0EEyLj256ELj2ELj256ELj100EEvPKT0_PS4_
; %bb.0:
	s_load_dwordx4 s[36:39], s[0:1], 0x0
	v_lshlrev_b32_e32 v1, 1, v0
	v_mov_b32_e32 v2, 0
	v_lshl_or_b32 v6, s2, 9, v1
	v_mov_b32_e32 v7, v2
	s_waitcnt lgkmcnt(0)
	v_mov_b32_e32 v4, s36
	v_mov_b32_e32 v5, s37
	v_lshl_add_u64 v[4:5], v[6:7], 3, v[4:5]
	global_load_dwordx4 v[28:31], v[4:5], off
	s_movk_i32 s0, 0x100
	v_mov_b32_e32 v9, v2
	v_cmp_gt_u32_e32 vcc, s0, v0
	s_movk_i32 s3, 0x64
	v_lshlrev_b32_e32 v35, 3, v0
	s_waitcnt vmcnt(0)
	v_lshlrev_b32_e32 v3, 30, v28
	v_and_b32_e32 v6, 1, v28
	v_and_b32_e32 v8, 1, v30
	v_cmp_gt_i64_e64 s[34:35], 0, v[2:3]
	v_not_b32_e32 v1, v3
	v_lshlrev_b32_e32 v3, 29, v28
	v_lshl_add_u64 v[4:5], v[6:7], 0, -1
	v_cmp_eq_u32_e64 s[0:1], 1, v6
	v_lshl_add_u64 v[6:7], v[8:9], 0, -1
	v_cmp_gt_i64_e64 s[6:7], 0, v[2:3]
	v_not_b32_e32 v9, v3
	v_lshlrev_b32_e32 v3, 28, v28
	v_cmp_gt_i64_e64 s[8:9], 0, v[2:3]
	v_not_b32_e32 v11, v3
	v_lshlrev_b32_e32 v3, 27, v28
	;; [unrolled: 3-line block ×13, first 2 shown]
	v_lshlrev_b32_e32 v38, 3, v30
	v_cmp_eq_u32_e64 s[4:5], 1, v8
	v_ashrrev_i32_e32 v8, 31, v1
	v_ashrrev_i32_e32 v10, 31, v9
	v_ashrrev_i32_e32 v12, 31, v11
	v_ashrrev_i32_e32 v14, 31, v13
	v_ashrrev_i32_e32 v16, 31, v15
	v_ashrrev_i32_e32 v18, 31, v17
	v_ashrrev_i32_e32 v20, 31, v19
	v_ashrrev_i32_e32 v22, 31, v21
	v_ashrrev_i32_e32 v24, 31, v23
	v_ashrrev_i32_e32 v26, 31, v25
	v_ashrrev_i32_e32 v28, 31, v27
	v_ashrrev_i32_e32 v30, 31, v29
	v_ashrrev_i32_e32 v32, 31, v31
	v_ashrrev_i32_e32 v34, 31, v3
	v_mov_b32_e32 v1, v8
	v_mov_b32_e32 v9, v10
	;; [unrolled: 1-line block ×14, first 2 shown]
	s_branch .LBB19_2
.LBB19_1:                               ;   in Loop: Header=BB19_2 Depth=1
	s_or_b64 exec, exec, s[40:41]
	s_add_i32 s3, s3, -1
	s_cmp_eq_u32 s3, 0
	s_waitcnt lgkmcnt(0)
	s_barrier
	s_cbranch_scc1 .LBB19_8
.LBB19_2:                               ; =>This Inner Loop Header: Depth=1
	s_and_saveexec_b64 s[36:37], vcc
	s_cbranch_execz .LBB19_4
; %bb.3:                                ;   in Loop: Header=BB19_2 Depth=1
	v_mov_b32_e32 v3, v2
	ds_write_b64 v35, v[2:3]
.LBB19_4:                               ;   in Loop: Header=BB19_2 Depth=1
	s_or_b64 exec, exec, s[36:37]
	v_cndmask_b32_e64 v3, 0, 1, s[0:1]
	v_cmp_ne_u32_e64 s[36:37], 0, v3
	v_cndmask_b32_e64 v39, 0, 1, s[34:35]
	s_waitcnt lgkmcnt(0)
	v_xor_b32_e32 v3, s37, v5
	v_xor_b32_e32 v36, s36, v4
	v_cmp_ne_u32_e64 s[36:37], 0, v39
	v_and_b32_e32 v3, exec_hi, v3
	v_and_b32_e32 v36, exec_lo, v36
	v_xor_b32_e32 v39, s37, v1
	v_and_b32_e32 v3, v3, v39
	v_cndmask_b32_e64 v39, 0, 1, s[6:7]
	v_xor_b32_e32 v40, s36, v8
	v_cmp_ne_u32_e64 s[36:37], 0, v39
	v_and_b32_e32 v36, v36, v40
	s_barrier
	v_xor_b32_e32 v39, s37, v9
	v_and_b32_e32 v3, v3, v39
	v_cndmask_b32_e64 v39, 0, 1, s[8:9]
	v_xor_b32_e32 v40, s36, v10
	v_cmp_ne_u32_e64 s[36:37], 0, v39
	v_and_b32_e32 v36, v36, v40
	s_nop 0
	v_xor_b32_e32 v39, s37, v11
	v_and_b32_e32 v3, v3, v39
	v_cndmask_b32_e64 v39, 0, 1, s[10:11]
	v_xor_b32_e32 v40, s36, v12
	v_cmp_ne_u32_e64 s[36:37], 0, v39
	v_and_b32_e32 v36, v36, v40
	s_nop 0
	;; [unrolled: 7-line block ×5, first 2 shown]
	v_xor_b32_e32 v40, s36, v20
	v_xor_b32_e32 v39, s37, v19
	v_and_b32_e32 v36, v36, v40
	v_and_b32_e32 v3, v3, v39
	v_mbcnt_lo_u32_b32 v39, v36, 0
	v_mbcnt_hi_u32_b32 v39, v3, v39
	v_cmp_eq_u32_e64 s[36:37], 0, v39
	s_and_saveexec_b64 s[40:41], s[36:37]
	s_cbranch_execz .LBB19_6
; %bb.5:                                ;   in Loop: Header=BB19_2 Depth=1
	v_bcnt_u32_b32 v36, v36, 0
	v_bcnt_u32_b32 v40, v3, v36
	v_mov_b32_e32 v41, v2
	ds_add_u64 v37, v[40:41]
.LBB19_6:                               ;   in Loop: Header=BB19_2 Depth=1
	s_or_b64 exec, exec, s[40:41]
	v_cndmask_b32_e64 v3, 0, 1, s[4:5]
	v_cmp_ne_u32_e64 s[36:37], 0, v3
	v_cndmask_b32_e64 v39, 0, 1, s[18:19]
	s_nop 0
	v_xor_b32_e32 v3, s37, v7
	v_xor_b32_e32 v36, s36, v6
	v_cmp_ne_u32_e64 s[36:37], 0, v39
	v_and_b32_e32 v3, exec_hi, v3
	v_and_b32_e32 v36, exec_lo, v36
	v_xor_b32_e32 v39, s37, v21
	v_and_b32_e32 v3, v3, v39
	v_cndmask_b32_e64 v39, 0, 1, s[20:21]
	v_xor_b32_e32 v40, s36, v22
	v_cmp_ne_u32_e64 s[36:37], 0, v39
	v_and_b32_e32 v36, v36, v40
	s_nop 0
	v_xor_b32_e32 v39, s37, v23
	v_and_b32_e32 v3, v3, v39
	v_cndmask_b32_e64 v39, 0, 1, s[22:23]
	v_xor_b32_e32 v40, s36, v24
	v_cmp_ne_u32_e64 s[36:37], 0, v39
	v_and_b32_e32 v36, v36, v40
	s_nop 0
	;; [unrolled: 7-line block ×6, first 2 shown]
	v_xor_b32_e32 v40, s36, v34
	v_xor_b32_e32 v39, s37, v33
	v_and_b32_e32 v36, v36, v40
	v_and_b32_e32 v3, v3, v39
	v_mbcnt_lo_u32_b32 v39, v36, 0
	v_mbcnt_hi_u32_b32 v39, v3, v39
	v_cmp_eq_u32_e64 s[36:37], 0, v39
	s_and_saveexec_b64 s[40:41], s[36:37]
	s_cbranch_execz .LBB19_1
; %bb.7:                                ;   in Loop: Header=BB19_2 Depth=1
	v_bcnt_u32_b32 v36, v36, 0
	v_bcnt_u32_b32 v40, v3, v36
	v_mov_b32_e32 v41, v2
	ds_add_u64 v38, v[40:41]
	s_branch .LBB19_1
.LBB19_8:
	s_and_saveexec_b64 s[0:1], vcc
	s_cbranch_execz .LBB19_10
; %bb.9:
	ds_read_b64 v[4:5], v35
	v_mov_b32_e32 v2, s38
	v_mov_b32_e32 v3, s39
	v_lshl_or_b32 v0, s2, 8, v0
	v_mov_b32_e32 v1, 0
	v_lshl_add_u64 v[0:1], v[0:1], 3, v[2:3]
	s_waitcnt lgkmcnt(0)
	global_store_dwordx2 v[0:1], v[4:5], off
.LBB19_10:
	s_endpgm
	.section	.rodata,"a",@progbits
	.p2align	6, 0x0
	.amdhsa_kernel _Z6kernelI9histogramILN6hipcub23BlockHistogramAlgorithmE0EEyLj256ELj2ELj256ELj100EEvPKT0_PS4_
		.amdhsa_group_segment_fixed_size 2048
		.amdhsa_private_segment_fixed_size 0
		.amdhsa_kernarg_size 16
		.amdhsa_user_sgpr_count 2
		.amdhsa_user_sgpr_dispatch_ptr 0
		.amdhsa_user_sgpr_queue_ptr 0
		.amdhsa_user_sgpr_kernarg_segment_ptr 1
		.amdhsa_user_sgpr_dispatch_id 0
		.amdhsa_user_sgpr_kernarg_preload_length 0
		.amdhsa_user_sgpr_kernarg_preload_offset 0
		.amdhsa_user_sgpr_private_segment_size 0
		.amdhsa_uses_dynamic_stack 0
		.amdhsa_enable_private_segment 0
		.amdhsa_system_sgpr_workgroup_id_x 1
		.amdhsa_system_sgpr_workgroup_id_y 0
		.amdhsa_system_sgpr_workgroup_id_z 0
		.amdhsa_system_sgpr_workgroup_info 0
		.amdhsa_system_vgpr_workitem_id 0
		.amdhsa_next_free_vgpr 42
		.amdhsa_next_free_sgpr 42
		.amdhsa_accum_offset 44
		.amdhsa_reserve_vcc 1
		.amdhsa_float_round_mode_32 0
		.amdhsa_float_round_mode_16_64 0
		.amdhsa_float_denorm_mode_32 3
		.amdhsa_float_denorm_mode_16_64 3
		.amdhsa_dx10_clamp 1
		.amdhsa_ieee_mode 1
		.amdhsa_fp16_overflow 0
		.amdhsa_tg_split 0
		.amdhsa_exception_fp_ieee_invalid_op 0
		.amdhsa_exception_fp_denorm_src 0
		.amdhsa_exception_fp_ieee_div_zero 0
		.amdhsa_exception_fp_ieee_overflow 0
		.amdhsa_exception_fp_ieee_underflow 0
		.amdhsa_exception_fp_ieee_inexact 0
		.amdhsa_exception_int_div_zero 0
	.end_amdhsa_kernel
	.section	.text._Z6kernelI9histogramILN6hipcub23BlockHistogramAlgorithmE0EEyLj256ELj2ELj256ELj100EEvPKT0_PS4_,"axG",@progbits,_Z6kernelI9histogramILN6hipcub23BlockHistogramAlgorithmE0EEyLj256ELj2ELj256ELj100EEvPKT0_PS4_,comdat
.Lfunc_end19:
	.size	_Z6kernelI9histogramILN6hipcub23BlockHistogramAlgorithmE0EEyLj256ELj2ELj256ELj100EEvPKT0_PS4_, .Lfunc_end19-_Z6kernelI9histogramILN6hipcub23BlockHistogramAlgorithmE0EEyLj256ELj2ELj256ELj100EEvPKT0_PS4_
                                        ; -- End function
	.section	.AMDGPU.csdata,"",@progbits
; Kernel info:
; codeLenInByte = 1272
; NumSgprs: 48
; NumVgprs: 42
; NumAgprs: 0
; TotalNumVgprs: 42
; ScratchSize: 0
; MemoryBound: 0
; FloatMode: 240
; IeeeMode: 1
; LDSByteSize: 2048 bytes/workgroup (compile time only)
; SGPRBlocks: 5
; VGPRBlocks: 5
; NumSGPRsForWavesPerEU: 48
; NumVGPRsForWavesPerEU: 42
; AccumOffset: 44
; Occupancy: 8
; WaveLimiterHint : 0
; COMPUTE_PGM_RSRC2:SCRATCH_EN: 0
; COMPUTE_PGM_RSRC2:USER_SGPR: 2
; COMPUTE_PGM_RSRC2:TRAP_HANDLER: 0
; COMPUTE_PGM_RSRC2:TGID_X_EN: 1
; COMPUTE_PGM_RSRC2:TGID_Y_EN: 0
; COMPUTE_PGM_RSRC2:TGID_Z_EN: 0
; COMPUTE_PGM_RSRC2:TIDIG_COMP_CNT: 0
; COMPUTE_PGM_RSRC3_GFX90A:ACCUM_OFFSET: 10
; COMPUTE_PGM_RSRC3_GFX90A:TG_SPLIT: 0
	.section	.text._Z6kernelI9histogramILN6hipcub23BlockHistogramAlgorithmE0EEyLj256ELj3ELj256ELj100EEvPKT0_PS4_,"axG",@progbits,_Z6kernelI9histogramILN6hipcub23BlockHistogramAlgorithmE0EEyLj256ELj3ELj256ELj100EEvPKT0_PS4_,comdat
	.protected	_Z6kernelI9histogramILN6hipcub23BlockHistogramAlgorithmE0EEyLj256ELj3ELj256ELj100EEvPKT0_PS4_ ; -- Begin function _Z6kernelI9histogramILN6hipcub23BlockHistogramAlgorithmE0EEyLj256ELj3ELj256ELj100EEvPKT0_PS4_
	.globl	_Z6kernelI9histogramILN6hipcub23BlockHistogramAlgorithmE0EEyLj256ELj3ELj256ELj100EEvPKT0_PS4_
	.p2align	8
	.type	_Z6kernelI9histogramILN6hipcub23BlockHistogramAlgorithmE0EEyLj256ELj3ELj256ELj100EEvPKT0_PS4_,@function
_Z6kernelI9histogramILN6hipcub23BlockHistogramAlgorithmE0EEyLj256ELj3ELj256ELj100EEvPKT0_PS4_: ; @_Z6kernelI9histogramILN6hipcub23BlockHistogramAlgorithmE0EEyLj256ELj3ELj256ELj100EEvPKT0_PS4_
; %bb.0:
	s_load_dwordx4 s[52:55], s[0:1], 0x0
	s_lshl_b32 s0, s2, 8
	v_or_b32_e32 v2, s0, v0
	v_mov_b32_e32 v4, 0
	v_lshl_add_u32 v6, v2, 1, v2
	v_mov_b32_e32 v7, v4
	s_waitcnt lgkmcnt(0)
	v_lshl_add_u64 v[8:9], v[6:7], 3, s[52:53]
	v_add_u32_e32 v10, 1, v6
	v_mov_b32_e32 v11, v4
	global_load_dwordx2 v[54:55], v[8:9], off
	v_lshl_add_u64 v[10:11], v[10:11], 3, s[52:53]
	v_add_u32_e32 v6, 2, v6
	v_lshl_add_u64 v[6:7], v[6:7], 3, s[52:53]
	global_load_dwordx2 v[52:53], v[10:11], off
	global_load_dwordx2 v[50:51], v[6:7], off
	s_movk_i32 s0, 0x100
	v_mov_b32_e32 v9, v4
	v_mov_b32_e32 v11, v4
	;; [unrolled: 1-line block ×3, first 2 shown]
	v_cmp_gt_u32_e32 vcc, s0, v0
	s_waitcnt vmcnt(0)
	v_lshlrev_b32_e32 v51, 3, v0
	s_movk_i32 s33, 0x64
	v_lshlrev_b32_e32 v5, 30, v54
	v_cmp_gt_i64_e64 s[2:3], 0, v[4:5]
	v_not_b32_e32 v1, v5
	v_lshlrev_b32_e32 v5, 29, v54
	v_and_b32_e32 v8, 1, v54
	v_and_b32_e32 v10, 1, v52
	;; [unrolled: 1-line block ×3, first 2 shown]
	v_cmp_gt_i64_e64 s[8:9], 0, v[4:5]
	v_not_b32_e32 v3, v5
	v_lshlrev_b32_e32 v5, 28, v54
	v_lshl_add_u64 v[6:7], v[8:9], 0, -1
	v_cmp_eq_u32_e64 s[0:1], 1, v8
	v_lshl_add_u64 v[8:9], v[10:11], 0, -1
	v_cmp_eq_u32_e64 s[4:5], 1, v10
	v_lshl_add_u64 v[10:11], v[12:13], 0, -1
	v_cmp_gt_i64_e64 s[10:11], 0, v[4:5]
	v_not_b32_e32 v13, v5
	v_lshlrev_b32_e32 v5, 27, v54
	v_ashrrev_i32_e32 v16, 31, v13
	v_cmp_gt_i64_e64 s[12:13], 0, v[4:5]
	v_not_b32_e32 v13, v5
	v_lshlrev_b32_e32 v5, 26, v54
	v_ashrrev_i32_e32 v18, 31, v13
	;; [unrolled: 4-line block ×14, first 2 shown]
	v_cmp_gt_i64_e64 s[40:41], 0, v[4:5]
	v_not_b32_e32 v13, v5
	v_lshlrev_b32_e32 v5, 27, v50
	v_cmp_gt_i64_e64 s[42:43], 0, v[4:5]
	v_not_b32_e32 v5, v5
	v_ashrrev_i32_e32 v46, 31, v5
	v_lshlrev_b32_e32 v5, 26, v50
	v_cmp_gt_i64_e64 s[44:45], 0, v[4:5]
	v_not_b32_e32 v5, v5
	v_ashrrev_i32_e32 v48, 31, v5
	v_lshlrev_b32_e32 v5, 25, v50
	v_cmp_gt_i64_e64 s[46:47], 0, v[4:5]
	v_not_b32_e32 v5, v5
	v_lshlrev_b32_e32 v53, 3, v54
	v_ashrrev_i32_e32 v54, 31, v5
	v_lshlrev_b32_e32 v5, 24, v50
	v_cmp_gt_i64_e64 s[48:49], 0, v[4:5]
	v_not_b32_e32 v5, v5
	v_cmp_eq_u32_e64 s[6:7], 1, v12
	v_ashrrev_i32_e32 v12, 31, v1
	v_ashrrev_i32_e32 v14, 31, v3
	;; [unrolled: 1-line block ×3, first 2 shown]
	v_lshlrev_b32_e32 v55, 3, v50
	v_ashrrev_i32_e32 v50, 31, v5
	v_mov_b32_e32 v1, v12
	v_mov_b32_e32 v3, v14
	v_lshlrev_b32_e32 v52, 3, v52
	v_mov_b32_e32 v13, v16
	v_mov_b32_e32 v15, v18
	;; [unrolled: 1-line block ×19, first 2 shown]
	s_branch .LBB20_2
.LBB20_1:                               ;   in Loop: Header=BB20_2 Depth=1
	s_or_b64 exec, exec, s[52:53]
	s_add_i32 s33, s33, -1
	s_cmp_eq_u32 s33, 0
	s_waitcnt lgkmcnt(0)
	s_barrier
	s_cbranch_scc1 .LBB20_10
.LBB20_2:                               ; =>This Inner Loop Header: Depth=1
	s_and_saveexec_b64 s[50:51], vcc
	s_cbranch_execz .LBB20_4
; %bb.3:                                ;   in Loop: Header=BB20_2 Depth=1
	v_mov_b32_e32 v5, v4
	ds_write_b64 v51, v[4:5]
.LBB20_4:                               ;   in Loop: Header=BB20_2 Depth=1
	s_or_b64 exec, exec, s[50:51]
	v_cndmask_b32_e64 v0, 0, 1, s[0:1]
	v_cmp_ne_u32_e64 s[50:51], 0, v0
	v_cndmask_b32_e64 v56, 0, 1, s[2:3]
	s_waitcnt lgkmcnt(0)
	v_xor_b32_e32 v0, s51, v7
	v_xor_b32_e32 v5, s50, v6
	v_cmp_ne_u32_e64 s[50:51], 0, v56
	v_and_b32_e32 v0, exec_hi, v0
	v_and_b32_e32 v5, exec_lo, v5
	v_xor_b32_e32 v56, s51, v1
	v_and_b32_e32 v0, v0, v56
	v_cndmask_b32_e64 v56, 0, 1, s[8:9]
	v_xor_b32_e32 v57, s50, v12
	v_cmp_ne_u32_e64 s[50:51], 0, v56
	v_and_b32_e32 v5, v5, v57
	s_barrier
	v_xor_b32_e32 v56, s51, v3
	v_and_b32_e32 v0, v0, v56
	v_cndmask_b32_e64 v56, 0, 1, s[10:11]
	v_xor_b32_e32 v57, s50, v14
	v_cmp_ne_u32_e64 s[50:51], 0, v56
	v_and_b32_e32 v5, v5, v57
	s_nop 0
	v_xor_b32_e32 v56, s51, v13
	v_and_b32_e32 v0, v0, v56
	v_cndmask_b32_e64 v56, 0, 1, s[12:13]
	v_xor_b32_e32 v57, s50, v16
	v_cmp_ne_u32_e64 s[50:51], 0, v56
	v_and_b32_e32 v5, v5, v57
	s_nop 0
	v_xor_b32_e32 v56, s51, v15
	v_and_b32_e32 v0, v0, v56
	v_cndmask_b32_e64 v56, 0, 1, s[14:15]
	v_xor_b32_e32 v57, s50, v18
	v_cmp_ne_u32_e64 s[50:51], 0, v56
	v_and_b32_e32 v5, v5, v57
	s_nop 0
	v_xor_b32_e32 v56, s51, v17
	v_and_b32_e32 v0, v0, v56
	v_cndmask_b32_e64 v56, 0, 1, s[16:17]
	v_xor_b32_e32 v57, s50, v20
	v_cmp_ne_u32_e64 s[50:51], 0, v56
	v_and_b32_e32 v5, v5, v57
	s_nop 0
	v_xor_b32_e32 v56, s51, v19
	v_xor_b32_e32 v57, s50, v22
	v_and_b32_e32 v0, v0, v56
	v_and_b32_e32 v56, v5, v57
	v_cndmask_b32_e64 v5, 0, 1, s[18:19]
	v_cmp_ne_u32_e64 s[50:51], 0, v5
	s_nop 1
	v_xor_b32_e32 v5, s51, v21
	v_xor_b32_e32 v57, s50, v24
	v_and_b32_e32 v5, v0, v5
	v_and_b32_e32 v0, v56, v57
	v_mbcnt_lo_u32_b32 v56, v0, 0
	v_mbcnt_hi_u32_b32 v56, v5, v56
	v_cmp_eq_u32_e64 s[50:51], 0, v56
	s_and_saveexec_b64 s[52:53], s[50:51]
	s_cbranch_execz .LBB20_6
; %bb.5:                                ;   in Loop: Header=BB20_2 Depth=1
	v_bcnt_u32_b32 v0, v0, 0
	v_bcnt_u32_b32 v56, v5, v0
	v_mov_b32_e32 v57, v4
	ds_add_u64 v53, v[56:57]
.LBB20_6:                               ;   in Loop: Header=BB20_2 Depth=1
	s_or_b64 exec, exec, s[52:53]
	v_cndmask_b32_e64 v0, 0, 1, s[4:5]
	v_cmp_ne_u32_e64 s[50:51], 0, v0
	v_cndmask_b32_e64 v56, 0, 1, s[20:21]
	s_nop 0
	v_xor_b32_e32 v0, s51, v9
	v_xor_b32_e32 v5, s50, v8
	v_cmp_ne_u32_e64 s[50:51], 0, v56
	v_and_b32_e32 v0, exec_hi, v0
	v_and_b32_e32 v5, exec_lo, v5
	v_xor_b32_e32 v56, s51, v23
	v_and_b32_e32 v0, v0, v56
	v_cndmask_b32_e64 v56, 0, 1, s[22:23]
	v_xor_b32_e32 v57, s50, v26
	v_cmp_ne_u32_e64 s[50:51], 0, v56
	v_and_b32_e32 v5, v5, v57
	s_nop 0
	v_xor_b32_e32 v56, s51, v25
	v_and_b32_e32 v0, v0, v56
	v_cndmask_b32_e64 v56, 0, 1, s[24:25]
	v_xor_b32_e32 v57, s50, v28
	v_cmp_ne_u32_e64 s[50:51], 0, v56
	v_and_b32_e32 v5, v5, v57
	s_nop 0
	;; [unrolled: 7-line block ×5, first 2 shown]
	v_xor_b32_e32 v56, s51, v33
	v_xor_b32_e32 v57, s50, v36
	v_and_b32_e32 v0, v0, v56
	v_and_b32_e32 v56, v5, v57
	v_cndmask_b32_e64 v5, 0, 1, s[34:35]
	v_cmp_ne_u32_e64 s[50:51], 0, v5
	s_nop 1
	v_xor_b32_e32 v5, s51, v35
	v_xor_b32_e32 v57, s50, v38
	v_and_b32_e32 v5, v0, v5
	v_and_b32_e32 v0, v56, v57
	v_mbcnt_lo_u32_b32 v56, v0, 0
	v_mbcnt_hi_u32_b32 v56, v5, v56
	v_cmp_eq_u32_e64 s[50:51], 0, v56
	s_and_saveexec_b64 s[52:53], s[50:51]
	s_cbranch_execz .LBB20_8
; %bb.7:                                ;   in Loop: Header=BB20_2 Depth=1
	v_bcnt_u32_b32 v0, v0, 0
	v_bcnt_u32_b32 v56, v5, v0
	v_mov_b32_e32 v57, v4
	ds_add_u64 v52, v[56:57]
.LBB20_8:                               ;   in Loop: Header=BB20_2 Depth=1
	s_or_b64 exec, exec, s[52:53]
	v_cndmask_b32_e64 v0, 0, 1, s[6:7]
	v_cmp_ne_u32_e64 s[50:51], 0, v0
	v_cndmask_b32_e64 v56, 0, 1, s[36:37]
	s_nop 0
	v_xor_b32_e32 v0, s51, v11
	v_xor_b32_e32 v5, s50, v10
	v_cmp_ne_u32_e64 s[50:51], 0, v56
	v_and_b32_e32 v0, exec_hi, v0
	v_and_b32_e32 v5, exec_lo, v5
	v_xor_b32_e32 v56, s51, v37
	v_and_b32_e32 v0, v0, v56
	v_cndmask_b32_e64 v56, 0, 1, s[38:39]
	v_xor_b32_e32 v57, s50, v40
	v_cmp_ne_u32_e64 s[50:51], 0, v56
	v_and_b32_e32 v5, v5, v57
	s_nop 0
	v_xor_b32_e32 v56, s51, v39
	v_and_b32_e32 v0, v0, v56
	v_cndmask_b32_e64 v56, 0, 1, s[40:41]
	v_xor_b32_e32 v57, s50, v42
	v_cmp_ne_u32_e64 s[50:51], 0, v56
	v_and_b32_e32 v5, v5, v57
	s_nop 0
	;; [unrolled: 7-line block ×5, first 2 shown]
	v_xor_b32_e32 v56, s51, v47
	v_xor_b32_e32 v57, s50, v54
	v_and_b32_e32 v0, v0, v56
	v_and_b32_e32 v56, v5, v57
	v_cndmask_b32_e64 v5, 0, 1, s[48:49]
	v_cmp_ne_u32_e64 s[50:51], 0, v5
	s_nop 1
	v_xor_b32_e32 v5, s51, v49
	v_xor_b32_e32 v57, s50, v50
	v_and_b32_e32 v5, v0, v5
	v_and_b32_e32 v0, v56, v57
	v_mbcnt_lo_u32_b32 v56, v0, 0
	v_mbcnt_hi_u32_b32 v56, v5, v56
	v_cmp_eq_u32_e64 s[50:51], 0, v56
	s_and_saveexec_b64 s[52:53], s[50:51]
	s_cbranch_execz .LBB20_1
; %bb.9:                                ;   in Loop: Header=BB20_2 Depth=1
	v_bcnt_u32_b32 v0, v0, 0
	v_bcnt_u32_b32 v56, v5, v0
	v_mov_b32_e32 v57, v4
	ds_add_u64 v55, v[56:57]
	s_branch .LBB20_1
.LBB20_10:
	s_and_saveexec_b64 s[0:1], vcc
	s_cbranch_execz .LBB20_12
; %bb.11:
	ds_read_b64 v[0:1], v51
	v_mov_b32_e32 v4, s54
	v_mov_b32_e32 v5, s55
	;; [unrolled: 1-line block ×3, first 2 shown]
	v_lshl_add_u64 v[2:3], v[2:3], 3, v[4:5]
	s_waitcnt lgkmcnt(0)
	global_store_dwordx2 v[2:3], v[0:1], off
.LBB20_12:
	s_endpgm
	.section	.rodata,"a",@progbits
	.p2align	6, 0x0
	.amdhsa_kernel _Z6kernelI9histogramILN6hipcub23BlockHistogramAlgorithmE0EEyLj256ELj3ELj256ELj100EEvPKT0_PS4_
		.amdhsa_group_segment_fixed_size 2048
		.amdhsa_private_segment_fixed_size 0
		.amdhsa_kernarg_size 16
		.amdhsa_user_sgpr_count 2
		.amdhsa_user_sgpr_dispatch_ptr 0
		.amdhsa_user_sgpr_queue_ptr 0
		.amdhsa_user_sgpr_kernarg_segment_ptr 1
		.amdhsa_user_sgpr_dispatch_id 0
		.amdhsa_user_sgpr_kernarg_preload_length 0
		.amdhsa_user_sgpr_kernarg_preload_offset 0
		.amdhsa_user_sgpr_private_segment_size 0
		.amdhsa_uses_dynamic_stack 0
		.amdhsa_enable_private_segment 0
		.amdhsa_system_sgpr_workgroup_id_x 1
		.amdhsa_system_sgpr_workgroup_id_y 0
		.amdhsa_system_sgpr_workgroup_id_z 0
		.amdhsa_system_sgpr_workgroup_info 0
		.amdhsa_system_vgpr_workitem_id 0
		.amdhsa_next_free_vgpr 58
		.amdhsa_next_free_sgpr 56
		.amdhsa_accum_offset 60
		.amdhsa_reserve_vcc 1
		.amdhsa_float_round_mode_32 0
		.amdhsa_float_round_mode_16_64 0
		.amdhsa_float_denorm_mode_32 3
		.amdhsa_float_denorm_mode_16_64 3
		.amdhsa_dx10_clamp 1
		.amdhsa_ieee_mode 1
		.amdhsa_fp16_overflow 0
		.amdhsa_tg_split 0
		.amdhsa_exception_fp_ieee_invalid_op 0
		.amdhsa_exception_fp_denorm_src 0
		.amdhsa_exception_fp_ieee_div_zero 0
		.amdhsa_exception_fp_ieee_overflow 0
		.amdhsa_exception_fp_ieee_underflow 0
		.amdhsa_exception_fp_ieee_inexact 0
		.amdhsa_exception_int_div_zero 0
	.end_amdhsa_kernel
	.section	.text._Z6kernelI9histogramILN6hipcub23BlockHistogramAlgorithmE0EEyLj256ELj3ELj256ELj100EEvPKT0_PS4_,"axG",@progbits,_Z6kernelI9histogramILN6hipcub23BlockHistogramAlgorithmE0EEyLj256ELj3ELj256ELj100EEvPKT0_PS4_,comdat
.Lfunc_end20:
	.size	_Z6kernelI9histogramILN6hipcub23BlockHistogramAlgorithmE0EEyLj256ELj3ELj256ELj100EEvPKT0_PS4_, .Lfunc_end20-_Z6kernelI9histogramILN6hipcub23BlockHistogramAlgorithmE0EEyLj256ELj3ELj256ELj100EEvPKT0_PS4_
                                        ; -- End function
	.section	.AMDGPU.csdata,"",@progbits
; Kernel info:
; codeLenInByte = 1852
; NumSgprs: 62
; NumVgprs: 58
; NumAgprs: 0
; TotalNumVgprs: 58
; ScratchSize: 0
; MemoryBound: 0
; FloatMode: 240
; IeeeMode: 1
; LDSByteSize: 2048 bytes/workgroup (compile time only)
; SGPRBlocks: 7
; VGPRBlocks: 7
; NumSGPRsForWavesPerEU: 62
; NumVGPRsForWavesPerEU: 58
; AccumOffset: 60
; Occupancy: 8
; WaveLimiterHint : 0
; COMPUTE_PGM_RSRC2:SCRATCH_EN: 0
; COMPUTE_PGM_RSRC2:USER_SGPR: 2
; COMPUTE_PGM_RSRC2:TRAP_HANDLER: 0
; COMPUTE_PGM_RSRC2:TGID_X_EN: 1
; COMPUTE_PGM_RSRC2:TGID_Y_EN: 0
; COMPUTE_PGM_RSRC2:TGID_Z_EN: 0
; COMPUTE_PGM_RSRC2:TIDIG_COMP_CNT: 0
; COMPUTE_PGM_RSRC3_GFX90A:ACCUM_OFFSET: 14
; COMPUTE_PGM_RSRC3_GFX90A:TG_SPLIT: 0
	.section	.text._Z6kernelI9histogramILN6hipcub23BlockHistogramAlgorithmE0EEyLj256ELj4ELj256ELj100EEvPKT0_PS4_,"axG",@progbits,_Z6kernelI9histogramILN6hipcub23BlockHistogramAlgorithmE0EEyLj256ELj4ELj256ELj100EEvPKT0_PS4_,comdat
	.protected	_Z6kernelI9histogramILN6hipcub23BlockHistogramAlgorithmE0EEyLj256ELj4ELj256ELj100EEvPKT0_PS4_ ; -- Begin function _Z6kernelI9histogramILN6hipcub23BlockHistogramAlgorithmE0EEyLj256ELj4ELj256ELj100EEvPKT0_PS4_
	.globl	_Z6kernelI9histogramILN6hipcub23BlockHistogramAlgorithmE0EEyLj256ELj4ELj256ELj100EEvPKT0_PS4_
	.p2align	8
	.type	_Z6kernelI9histogramILN6hipcub23BlockHistogramAlgorithmE0EEyLj256ELj4ELj256ELj100EEvPKT0_PS4_,@function
_Z6kernelI9histogramILN6hipcub23BlockHistogramAlgorithmE0EEyLj256ELj4ELj256ELj100EEvPKT0_PS4_: ; @_Z6kernelI9histogramILN6hipcub23BlockHistogramAlgorithmE0EEyLj256ELj4ELj256ELj100EEvPKT0_PS4_
; %bb.0:
	s_load_dwordx4 s[68:71], s[0:1], 0x0
	v_lshlrev_b32_e32 v1, 2, v0
	v_mov_b32_e32 v10, 0
	v_lshl_or_b32 v4, s2, 10, v1
	v_mov_b32_e32 v5, v10
	s_waitcnt lgkmcnt(0)
	v_mov_b32_e32 v2, s68
	v_mov_b32_e32 v3, s69
	v_lshl_add_u64 v[12:13], v[4:5], 3, v[2:3]
	global_load_dwordx4 v[6:9], v[12:13], off
	global_load_dwordx4 v[2:5], v[12:13], off offset:16
	s_movk_i32 s0, 0x100
	v_mov_b32_e32 v15, v10
	v_mov_b32_e32 v17, v10
	;; [unrolled: 1-line block ×3, first 2 shown]
	v_cmp_gt_u32_e32 vcc, s0, v0
	s_waitcnt vmcnt(1)
	v_mov_b32_e32 v7, v10
	s_movk_i32 s3, 0x64
	v_lshlrev_b32_e32 v72, 3, v0
	v_lshlrev_b32_e32 v11, 30, v6
	v_and_b32_e32 v14, 1, v6
	v_and_b32_e32 v16, 1, v8
	s_waitcnt vmcnt(0)
	v_and_b32_e32 v18, 1, v2
	v_cmp_gt_i64_e64 s[66:67], 0, v[10:11]
	v_not_b32_e32 v1, v11
	v_lshlrev_b32_e32 v11, 29, v6
	v_lshl_add_u64 v[12:13], v[14:15], 0, -1
	v_cmp_eq_u32_e64 s[0:1], 1, v14
	v_lshl_add_u64 v[14:15], v[16:17], 0, -1
	v_cmp_eq_u32_e64 s[4:5], 1, v16
	;; [unrolled: 2-line block ×3, first 2 shown]
	v_ashrrev_i32_e32 v18, 31, v1
	v_cmp_gt_i64_e64 s[8:9], 0, v[10:11]
	v_not_b32_e32 v1, v11
	v_lshlrev_b32_e32 v11, 28, v6
	v_ashrrev_i32_e32 v20, 31, v1
	v_cmp_gt_i64_e64 s[10:11], 0, v[10:11]
	v_not_b32_e32 v1, v11
	v_lshlrev_b32_e32 v11, 27, v6
	v_ashrrev_i32_e32 v22, 31, v1
	v_cmp_gt_i64_e64 s[12:13], 0, v[10:11]
	v_not_b32_e32 v1, v11
	v_lshlrev_b32_e32 v11, 26, v6
	v_ashrrev_i32_e32 v24, 31, v1
	v_cmp_gt_i64_e64 s[14:15], 0, v[10:11]
	v_not_b32_e32 v1, v11
	v_lshlrev_b32_e32 v11, 25, v6
	v_ashrrev_i32_e32 v26, 31, v1
	v_cmp_gt_i64_e64 s[16:17], 0, v[10:11]
	v_not_b32_e32 v1, v11
	v_lshlrev_b32_e32 v11, 24, v6
	v_ashrrev_i32_e32 v28, 31, v1
	v_cmp_gt_i64_e64 s[18:19], 0, v[10:11]
	v_not_b32_e32 v1, v11
	v_lshlrev_b32_e32 v11, 30, v8
	v_ashrrev_i32_e32 v30, 31, v1
	v_cmp_gt_i64_e64 s[20:21], 0, v[10:11]
	v_not_b32_e32 v1, v11
	v_lshlrev_b32_e32 v11, 29, v8
	v_ashrrev_i32_e32 v32, 31, v1
	v_cmp_gt_i64_e64 s[22:23], 0, v[10:11]
	v_not_b32_e32 v1, v11
	v_lshlrev_b32_e32 v11, 28, v8
	v_ashrrev_i32_e32 v34, 31, v1
	v_cmp_gt_i64_e64 s[24:25], 0, v[10:11]
	v_not_b32_e32 v1, v11
	v_lshlrev_b32_e32 v11, 27, v8
	v_ashrrev_i32_e32 v36, 31, v1
	v_cmp_gt_i64_e64 s[26:27], 0, v[10:11]
	v_not_b32_e32 v1, v11
	v_lshlrev_b32_e32 v11, 26, v8
	v_ashrrev_i32_e32 v38, 31, v1
	v_cmp_gt_i64_e64 s[28:29], 0, v[10:11]
	v_not_b32_e32 v1, v11
	v_lshlrev_b32_e32 v11, 25, v8
	v_ashrrev_i32_e32 v40, 31, v1
	v_cmp_gt_i64_e64 s[30:31], 0, v[10:11]
	v_not_b32_e32 v1, v11
	v_lshlrev_b32_e32 v11, 24, v8
	v_ashrrev_i32_e32 v42, 31, v1
	v_cmp_gt_i64_e64 s[34:35], 0, v[10:11]
	v_not_b32_e32 v1, v11
	v_lshlrev_b32_e32 v11, 30, v2
	v_ashrrev_i32_e32 v44, 31, v1
	v_cmp_gt_i64_e64 s[36:37], 0, v[10:11]
	v_not_b32_e32 v1, v11
	v_lshlrev_b32_e32 v11, 29, v2
	v_ashrrev_i32_e32 v46, 31, v1
	v_cmp_gt_i64_e64 s[38:39], 0, v[10:11]
	v_not_b32_e32 v1, v11
	v_lshlrev_b32_e32 v11, 28, v2
	v_ashrrev_i32_e32 v48, 31, v1
	v_cmp_gt_i64_e64 s[40:41], 0, v[10:11]
	v_not_b32_e32 v1, v11
	v_lshlrev_b32_e32 v11, 27, v2
	v_cmp_gt_i64_e64 s[42:43], 0, v[10:11]
	v_not_b32_e32 v3, v11
	v_lshlrev_b32_e32 v11, 26, v2
	v_cmp_gt_i64_e64 s[44:45], 0, v[10:11]
	v_not_b32_e32 v5, v11
	v_lshlrev_b32_e32 v11, 25, v2
	;; [unrolled: 3-line block ×10, first 2 shown]
	v_lshlrev_b32_e32 v70, 3, v2
	v_ashrrev_i32_e32 v2, 31, v1
	v_not_b32_e32 v1, v11
	v_lshlrev_b32_e32 v67, 3, v6
	v_lshlrev_b32_e32 v69, 3, v8
	;; [unrolled: 1-line block ×3, first 2 shown]
	v_and_b32_e32 v6, 1, v4
	v_ashrrev_i32_e32 v4, 31, v3
	v_ashrrev_i32_e32 v8, 31, v5
	;; [unrolled: 1-line block ×11, first 2 shown]
	v_cmp_eq_u32_e64 s[62:63], 1, v6
	v_lshl_add_u64 v[6:7], v[6:7], 0, -1
	v_cmp_gt_i64_e64 s[64:65], 0, v[10:11]
	v_mov_b32_e32 v1, v18
	v_mov_b32_e32 v3, v20
	;; [unrolled: 1-line block ×28, first 2 shown]
	s_branch .LBB21_2
.LBB21_1:                               ;   in Loop: Header=BB21_2 Depth=1
	s_or_b64 exec, exec, s[72:73]
	s_add_i32 s3, s3, -1
	s_cmp_eq_u32 s3, 0
	s_waitcnt lgkmcnt(0)
	s_barrier
	s_cbranch_scc1 .LBB21_12
.LBB21_2:                               ; =>This Inner Loop Header: Depth=1
	s_and_saveexec_b64 s[68:69], vcc
	s_cbranch_execz .LBB21_4
; %bb.3:                                ;   in Loop: Header=BB21_2 Depth=1
	v_mov_b32_e32 v11, v10
	ds_write_b64 v72, v[10:11]
.LBB21_4:                               ;   in Loop: Header=BB21_2 Depth=1
	s_or_b64 exec, exec, s[68:69]
	v_cndmask_b32_e64 v11, 0, 1, s[0:1]
	v_cmp_ne_u32_e64 s[68:69], 0, v11
	v_cndmask_b32_e64 v73, 0, 1, s[66:67]
	s_waitcnt lgkmcnt(0)
	v_xor_b32_e32 v11, s69, v13
	v_xor_b32_e32 v68, s68, v12
	v_cmp_ne_u32_e64 s[68:69], 0, v73
	v_and_b32_e32 v11, exec_hi, v11
	v_and_b32_e32 v68, exec_lo, v68
	v_xor_b32_e32 v73, s69, v1
	v_and_b32_e32 v11, v11, v73
	v_cndmask_b32_e64 v73, 0, 1, s[8:9]
	v_xor_b32_e32 v74, s68, v18
	v_cmp_ne_u32_e64 s[68:69], 0, v73
	v_and_b32_e32 v68, v68, v74
	s_barrier
	v_xor_b32_e32 v73, s69, v3
	v_and_b32_e32 v11, v11, v73
	v_cndmask_b32_e64 v73, 0, 1, s[10:11]
	v_xor_b32_e32 v74, s68, v20
	v_cmp_ne_u32_e64 s[68:69], 0, v73
	v_and_b32_e32 v68, v68, v74
	s_nop 0
	v_xor_b32_e32 v73, s69, v5
	v_and_b32_e32 v11, v11, v73
	v_cndmask_b32_e64 v73, 0, 1, s[12:13]
	v_xor_b32_e32 v74, s68, v22
	v_cmp_ne_u32_e64 s[68:69], 0, v73
	v_and_b32_e32 v68, v68, v74
	s_nop 0
	;; [unrolled: 7-line block ×5, first 2 shown]
	v_xor_b32_e32 v74, s68, v30
	v_xor_b32_e32 v73, s69, v23
	v_and_b32_e32 v68, v68, v74
	v_and_b32_e32 v11, v11, v73
	v_mbcnt_lo_u32_b32 v73, v68, 0
	v_mbcnt_hi_u32_b32 v73, v11, v73
	v_cmp_eq_u32_e64 s[68:69], 0, v73
	s_and_saveexec_b64 s[72:73], s[68:69]
	s_cbranch_execz .LBB21_6
; %bb.5:                                ;   in Loop: Header=BB21_2 Depth=1
	v_bcnt_u32_b32 v68, v68, 0
	v_bcnt_u32_b32 v74, v11, v68
	v_mov_b32_e32 v75, v10
	ds_add_u64 v67, v[74:75]
.LBB21_6:                               ;   in Loop: Header=BB21_2 Depth=1
	s_or_b64 exec, exec, s[72:73]
	v_cndmask_b32_e64 v11, 0, 1, s[4:5]
	v_cmp_ne_u32_e64 s[68:69], 0, v11
	v_cndmask_b32_e64 v73, 0, 1, s[20:21]
	s_nop 0
	v_xor_b32_e32 v11, s69, v15
	v_xor_b32_e32 v68, s68, v14
	v_cmp_ne_u32_e64 s[68:69], 0, v73
	v_and_b32_e32 v11, exec_hi, v11
	v_and_b32_e32 v68, exec_lo, v68
	v_xor_b32_e32 v73, s69, v25
	v_and_b32_e32 v11, v11, v73
	v_cndmask_b32_e64 v73, 0, 1, s[22:23]
	v_xor_b32_e32 v74, s68, v32
	v_cmp_ne_u32_e64 s[68:69], 0, v73
	v_and_b32_e32 v68, v68, v74
	s_nop 0
	v_xor_b32_e32 v73, s69, v27
	v_and_b32_e32 v11, v11, v73
	v_cndmask_b32_e64 v73, 0, 1, s[24:25]
	v_xor_b32_e32 v74, s68, v34
	v_cmp_ne_u32_e64 s[68:69], 0, v73
	v_and_b32_e32 v68, v68, v74
	s_nop 0
	;; [unrolled: 7-line block ×6, first 2 shown]
	v_xor_b32_e32 v74, s68, v44
	v_xor_b32_e32 v73, s69, v37
	v_and_b32_e32 v68, v68, v74
	v_and_b32_e32 v11, v11, v73
	v_mbcnt_lo_u32_b32 v73, v68, 0
	v_mbcnt_hi_u32_b32 v73, v11, v73
	v_cmp_eq_u32_e64 s[68:69], 0, v73
	s_and_saveexec_b64 s[72:73], s[68:69]
	s_cbranch_execz .LBB21_8
; %bb.7:                                ;   in Loop: Header=BB21_2 Depth=1
	v_bcnt_u32_b32 v68, v68, 0
	v_bcnt_u32_b32 v74, v11, v68
	v_mov_b32_e32 v75, v10
	ds_add_u64 v69, v[74:75]
.LBB21_8:                               ;   in Loop: Header=BB21_2 Depth=1
	s_or_b64 exec, exec, s[72:73]
	v_cndmask_b32_e64 v11, 0, 1, s[6:7]
	v_cmp_ne_u32_e64 s[68:69], 0, v11
	v_cndmask_b32_e64 v73, 0, 1, s[36:37]
	s_nop 0
	v_xor_b32_e32 v11, s69, v17
	v_xor_b32_e32 v68, s68, v16
	v_cmp_ne_u32_e64 s[68:69], 0, v73
	v_and_b32_e32 v11, exec_hi, v11
	v_and_b32_e32 v68, exec_lo, v68
	v_xor_b32_e32 v73, s69, v39
	v_and_b32_e32 v11, v11, v73
	v_cndmask_b32_e64 v73, 0, 1, s[38:39]
	v_xor_b32_e32 v74, s68, v46
	v_cmp_ne_u32_e64 s[68:69], 0, v73
	v_and_b32_e32 v68, v68, v74
	s_nop 0
	v_xor_b32_e32 v73, s69, v41
	v_and_b32_e32 v11, v11, v73
	v_cndmask_b32_e64 v73, 0, 1, s[40:41]
	v_xor_b32_e32 v74, s68, v48
	v_cmp_ne_u32_e64 s[68:69], 0, v73
	v_and_b32_e32 v68, v68, v74
	s_nop 0
	;; [unrolled: 7-line block ×6, first 2 shown]
	v_xor_b32_e32 v74, s68, v52
	v_xor_b32_e32 v73, s69, v51
	v_and_b32_e32 v68, v68, v74
	v_and_b32_e32 v11, v11, v73
	v_mbcnt_lo_u32_b32 v73, v68, 0
	v_mbcnt_hi_u32_b32 v73, v11, v73
	v_cmp_eq_u32_e64 s[68:69], 0, v73
	s_and_saveexec_b64 s[72:73], s[68:69]
	s_cbranch_execz .LBB21_10
; %bb.9:                                ;   in Loop: Header=BB21_2 Depth=1
	v_bcnt_u32_b32 v68, v68, 0
	v_bcnt_u32_b32 v74, v11, v68
	v_mov_b32_e32 v75, v10
	ds_add_u64 v70, v[74:75]
.LBB21_10:                              ;   in Loop: Header=BB21_2 Depth=1
	s_or_b64 exec, exec, s[72:73]
	v_cndmask_b32_e64 v11, 0, 1, s[62:63]
	v_cmp_ne_u32_e64 s[68:69], 0, v11
	v_cndmask_b32_e64 v73, 0, 1, s[50:51]
	s_nop 0
	v_xor_b32_e32 v11, s69, v7
	v_xor_b32_e32 v68, s68, v6
	v_cmp_ne_u32_e64 s[68:69], 0, v73
	v_and_b32_e32 v11, exec_hi, v11
	v_and_b32_e32 v68, exec_lo, v68
	v_xor_b32_e32 v73, s69, v53
	v_and_b32_e32 v11, v11, v73
	v_cndmask_b32_e64 v73, 0, 1, s[52:53]
	v_xor_b32_e32 v74, s68, v54
	v_cmp_ne_u32_e64 s[68:69], 0, v73
	v_and_b32_e32 v68, v68, v74
	s_nop 0
	v_xor_b32_e32 v73, s69, v55
	v_and_b32_e32 v11, v11, v73
	v_cndmask_b32_e64 v73, 0, 1, s[54:55]
	v_xor_b32_e32 v74, s68, v56
	v_cmp_ne_u32_e64 s[68:69], 0, v73
	v_and_b32_e32 v68, v68, v74
	s_nop 0
	;; [unrolled: 7-line block ×6, first 2 shown]
	v_xor_b32_e32 v74, s68, v66
	v_xor_b32_e32 v73, s69, v65
	v_and_b32_e32 v68, v68, v74
	v_and_b32_e32 v11, v11, v73
	v_mbcnt_lo_u32_b32 v73, v68, 0
	v_mbcnt_hi_u32_b32 v73, v11, v73
	v_cmp_eq_u32_e64 s[68:69], 0, v73
	s_and_saveexec_b64 s[72:73], s[68:69]
	s_cbranch_execz .LBB21_1
; %bb.11:                               ;   in Loop: Header=BB21_2 Depth=1
	v_bcnt_u32_b32 v68, v68, 0
	v_bcnt_u32_b32 v74, v11, v68
	v_mov_b32_e32 v75, v10
	ds_add_u64 v71, v[74:75]
	s_branch .LBB21_1
.LBB21_12:
	s_and_saveexec_b64 s[0:1], vcc
	s_cbranch_execz .LBB21_14
; %bb.13:
	ds_read_b64 v[4:5], v72
	v_mov_b32_e32 v2, s70
	v_mov_b32_e32 v3, s71
	v_lshl_or_b32 v0, s2, 8, v0
	v_mov_b32_e32 v1, 0
	v_lshl_add_u64 v[0:1], v[0:1], 3, v[2:3]
	s_waitcnt lgkmcnt(0)
	global_store_dwordx2 v[0:1], v[4:5], off
.LBB21_14:
	s_endpgm
	.section	.rodata,"a",@progbits
	.p2align	6, 0x0
	.amdhsa_kernel _Z6kernelI9histogramILN6hipcub23BlockHistogramAlgorithmE0EEyLj256ELj4ELj256ELj100EEvPKT0_PS4_
		.amdhsa_group_segment_fixed_size 2048
		.amdhsa_private_segment_fixed_size 0
		.amdhsa_kernarg_size 16
		.amdhsa_user_sgpr_count 2
		.amdhsa_user_sgpr_dispatch_ptr 0
		.amdhsa_user_sgpr_queue_ptr 0
		.amdhsa_user_sgpr_kernarg_segment_ptr 1
		.amdhsa_user_sgpr_dispatch_id 0
		.amdhsa_user_sgpr_kernarg_preload_length 0
		.amdhsa_user_sgpr_kernarg_preload_offset 0
		.amdhsa_user_sgpr_private_segment_size 0
		.amdhsa_uses_dynamic_stack 0
		.amdhsa_enable_private_segment 0
		.amdhsa_system_sgpr_workgroup_id_x 1
		.amdhsa_system_sgpr_workgroup_id_y 0
		.amdhsa_system_sgpr_workgroup_id_z 0
		.amdhsa_system_sgpr_workgroup_info 0
		.amdhsa_system_vgpr_workitem_id 0
		.amdhsa_next_free_vgpr 76
		.amdhsa_next_free_sgpr 74
		.amdhsa_accum_offset 76
		.amdhsa_reserve_vcc 1
		.amdhsa_float_round_mode_32 0
		.amdhsa_float_round_mode_16_64 0
		.amdhsa_float_denorm_mode_32 3
		.amdhsa_float_denorm_mode_16_64 3
		.amdhsa_dx10_clamp 1
		.amdhsa_ieee_mode 1
		.amdhsa_fp16_overflow 0
		.amdhsa_tg_split 0
		.amdhsa_exception_fp_ieee_invalid_op 0
		.amdhsa_exception_fp_denorm_src 0
		.amdhsa_exception_fp_ieee_div_zero 0
		.amdhsa_exception_fp_ieee_overflow 0
		.amdhsa_exception_fp_ieee_underflow 0
		.amdhsa_exception_fp_ieee_inexact 0
		.amdhsa_exception_int_div_zero 0
	.end_amdhsa_kernel
	.section	.text._Z6kernelI9histogramILN6hipcub23BlockHistogramAlgorithmE0EEyLj256ELj4ELj256ELj100EEvPKT0_PS4_,"axG",@progbits,_Z6kernelI9histogramILN6hipcub23BlockHistogramAlgorithmE0EEyLj256ELj4ELj256ELj100EEvPKT0_PS4_,comdat
.Lfunc_end21:
	.size	_Z6kernelI9histogramILN6hipcub23BlockHistogramAlgorithmE0EEyLj256ELj4ELj256ELj100EEvPKT0_PS4_, .Lfunc_end21-_Z6kernelI9histogramILN6hipcub23BlockHistogramAlgorithmE0EEyLj256ELj4ELj256ELj100EEvPKT0_PS4_
                                        ; -- End function
	.section	.AMDGPU.csdata,"",@progbits
; Kernel info:
; codeLenInByte = 2376
; NumSgprs: 80
; NumVgprs: 76
; NumAgprs: 0
; TotalNumVgprs: 76
; ScratchSize: 0
; MemoryBound: 0
; FloatMode: 240
; IeeeMode: 1
; LDSByteSize: 2048 bytes/workgroup (compile time only)
; SGPRBlocks: 9
; VGPRBlocks: 9
; NumSGPRsForWavesPerEU: 80
; NumVGPRsForWavesPerEU: 76
; AccumOffset: 76
; Occupancy: 6
; WaveLimiterHint : 0
; COMPUTE_PGM_RSRC2:SCRATCH_EN: 0
; COMPUTE_PGM_RSRC2:USER_SGPR: 2
; COMPUTE_PGM_RSRC2:TRAP_HANDLER: 0
; COMPUTE_PGM_RSRC2:TGID_X_EN: 1
; COMPUTE_PGM_RSRC2:TGID_Y_EN: 0
; COMPUTE_PGM_RSRC2:TGID_Z_EN: 0
; COMPUTE_PGM_RSRC2:TIDIG_COMP_CNT: 0
; COMPUTE_PGM_RSRC3_GFX90A:ACCUM_OFFSET: 18
; COMPUTE_PGM_RSRC3_GFX90A:TG_SPLIT: 0
	.section	.text._Z6kernelI9histogramILN6hipcub23BlockHistogramAlgorithmE0EEyLj256ELj8ELj256ELj100EEvPKT0_PS4_,"axG",@progbits,_Z6kernelI9histogramILN6hipcub23BlockHistogramAlgorithmE0EEyLj256ELj8ELj256ELj100EEvPKT0_PS4_,comdat
	.protected	_Z6kernelI9histogramILN6hipcub23BlockHistogramAlgorithmE0EEyLj256ELj8ELj256ELj100EEvPKT0_PS4_ ; -- Begin function _Z6kernelI9histogramILN6hipcub23BlockHistogramAlgorithmE0EEyLj256ELj8ELj256ELj100EEvPKT0_PS4_
	.globl	_Z6kernelI9histogramILN6hipcub23BlockHistogramAlgorithmE0EEyLj256ELj8ELj256ELj100EEvPKT0_PS4_
	.p2align	8
	.type	_Z6kernelI9histogramILN6hipcub23BlockHistogramAlgorithmE0EEyLj256ELj8ELj256ELj100EEvPKT0_PS4_,@function
_Z6kernelI9histogramILN6hipcub23BlockHistogramAlgorithmE0EEyLj256ELj8ELj256ELj100EEvPKT0_PS4_: ; @_Z6kernelI9histogramILN6hipcub23BlockHistogramAlgorithmE0EEyLj256ELj8ELj256ELj100EEvPKT0_PS4_
; %bb.0:
	s_load_dwordx4 s[4:7], s[0:1], 0x0
	v_lshlrev_b32_e32 v117, 3, v0
                                        ; implicit-def: $vgpr145 : SGPR spill to VGPR lane
	v_mov_b32_e32 v18, 0
	v_lshl_or_b32 v4, s2, 11, v117
	v_mov_b32_e32 v5, v18
	s_waitcnt lgkmcnt(0)
	v_mov_b32_e32 v2, s4
	v_writelane_b32 v145, s4, 0
	v_mov_b32_e32 v141, v18
	v_mov_b32_e32 v149, v18
	;; [unrolled: 1-line block ×3, first 2 shown]
	v_lshl_add_u64 v[20:21], v[4:5], 3, v[2:3]
	global_load_dwordx4 v[10:13], v[20:21], off
	global_load_dwordx4 v[6:9], v[20:21], off offset:16
	global_load_dwordx4 v[2:5], v[20:21], off offset:32
	;; [unrolled: 1-line block ×3, first 2 shown]
	v_writelane_b32 v145, s5, 1
	v_writelane_b32 v145, s6, 2
	;; [unrolled: 1-line block ×4, first 2 shown]
	v_mov_b32_e32 v139, v18
	v_mov_b32_e32 v153, v18
	;; [unrolled: 1-line block ×6, first 2 shown]
	s_movk_i32 s2, 0x100
	v_cmp_gt_u32_e64 s[16:17], s2, v0
	s_movk_i32 s33, 0x64
	s_waitcnt vmcnt(3)
	v_lshlrev_b32_e32 v19, 30, v10
	v_cmp_gt_i64_e64 s[0:1], 0, v[18:19]
	v_not_b32_e32 v1, v19
	v_lshlrev_b32_e32 v19, 29, v10
	v_writelane_b32 v145, s0, 5
	v_ashrrev_i32_e32 v20, 31, v1
	v_not_b32_e32 v1, v19
	v_writelane_b32 v145, s1, 6
	v_cmp_gt_i64_e64 s[0:1], 0, v[18:19]
	v_lshlrev_b32_e32 v19, 28, v10
	v_ashrrev_i32_e32 v22, 31, v1
	v_writelane_b32 v145, s0, 7
	v_not_b32_e32 v1, v19
	v_ashrrev_i32_e32 v24, 31, v1
	v_writelane_b32 v145, s1, 8
	v_cmp_gt_i64_e64 s[0:1], 0, v[18:19]
	v_lshlrev_b32_e32 v19, 27, v10
	v_not_b32_e32 v1, v19
	v_writelane_b32 v145, s0, 9
	v_ashrrev_i32_e32 v26, 31, v1
	s_waitcnt vmcnt(2)
	v_lshlrev_b32_e32 v121, 3, v6
	v_writelane_b32 v145, s1, 10
	v_cmp_gt_i64_e64 s[0:1], 0, v[18:19]
	v_lshlrev_b32_e32 v19, 26, v10
	v_not_b32_e32 v1, v19
	v_writelane_b32 v145, s0, 11
	v_ashrrev_i32_e32 v28, 31, v1
	v_and_b32_e32 v138, 1, v6
	v_writelane_b32 v145, s1, 12
	v_cmp_gt_i64_e64 s[0:1], 0, v[18:19]
	v_lshlrev_b32_e32 v19, 25, v10
	v_not_b32_e32 v1, v19
	v_writelane_b32 v145, s0, 13
	v_lshlrev_b32_e32 v119, 3, v10
	v_and_b32_e32 v140, 1, v10
	v_writelane_b32 v145, s1, 14
	v_cmp_gt_i64_e64 s[0:1], 0, v[18:19]
	v_lshlrev_b32_e32 v19, 24, v10
	s_waitcnt vmcnt(1)
	v_not_b32_e32 v3, v19
	v_writelane_b32 v145, s0, 15
	v_ashrrev_i32_e32 v10, 31, v3
	s_waitcnt vmcnt(0)
	v_lshlrev_b32_e32 v143, 3, v14
	v_writelane_b32 v145, s1, 16
	v_cmp_gt_i64_e64 s[0:1], 0, v[18:19]
	v_lshlrev_b32_e32 v19, 30, v12
	v_not_b32_e32 v5, v19
	v_writelane_b32 v145, s0, 17
	v_ashrrev_i32_e32 v30, 31, v5
	v_and_b32_e32 v146, 1, v2
	v_writelane_b32 v145, s1, 18
	v_cmp_gt_i64_e64 s[0:1], 0, v[18:19]
	v_lshlrev_b32_e32 v19, 29, v12
	v_not_b32_e32 v7, v19
	v_writelane_b32 v145, s0, 19
	v_ashrrev_i32_e32 v32, 31, v7
	v_and_b32_e32 v148, 1, v12
	;; [unrolled: 7-line block ×6, first 2 shown]
	v_writelane_b32 v145, s1, 28
	v_cmp_gt_i64_e64 s[0:1], 0, v[18:19]
	v_lshlrev_b32_e32 v19, 24, v12
	v_not_b32_e32 v17, v19
	v_writelane_b32 v145, s0, 29
	v_ashrrev_i32_e32 v42, 31, v17
	v_lshlrev_b32_e32 v123, 3, v8
	v_writelane_b32 v145, s1, 30
	v_cmp_gt_i64_e64 s[0:1], 0, v[18:19]
	v_lshlrev_b32_e32 v19, 30, v6
	v_not_b32_e32 v21, v19
	v_writelane_b32 v145, s0, 31
	v_ashrrev_i32_e32 v44, 31, v21
	v_lshlrev_b32_e32 v125, 3, v2
	;; [unrolled: 7-line block ×4, first 2 shown]
	v_writelane_b32 v145, s1, 36
	v_cmp_gt_i64_e64 s[0:1], 0, v[18:19]
	v_lshlrev_b32_e32 v19, 27, v6
	v_cmp_gt_i64_e64 s[34:35], 0, v[18:19]
	v_not_b32_e32 v27, v19
	v_lshlrev_b32_e32 v19, 26, v6
	v_cmp_gt_i64_e64 s[36:37], 0, v[18:19]
	v_not_b32_e32 v29, v19
	;; [unrolled: 3-line block ×18, first 2 shown]
	v_lshlrev_b32_e32 v19, 30, v4
	v_not_b32_e32 v63, v19
	v_cmp_gt_i64_e64 s[70:71], 0, v[18:19]
	v_lshlrev_b32_e32 v19, 29, v4
	v_not_b32_e32 v65, v19
	v_cmp_gt_i64_e64 s[72:73], 0, v[18:19]
	;; [unrolled: 3-line block ×7, first 2 shown]
	v_lshlrev_b32_e32 v19, 30, v14
	v_ashrrev_i32_e32 v6, 31, v1
	v_not_b32_e32 v1, v19
	v_cmp_gt_i64_e64 s[84:85], 0, v[18:19]
	v_lshlrev_b32_e32 v19, 29, v14
	v_not_b32_e32 v3, v19
	v_cmp_gt_i64_e64 s[86:87], 0, v[18:19]
	v_lshlrev_b32_e32 v19, 28, v14
	;; [unrolled: 3-line block ×7, first 2 shown]
	v_writelane_b32 v145, s0, 37
	v_not_b32_e32 v15, v19
	v_cmp_gt_i64_e64 s[98:99], 0, v[18:19]
	v_lshlrev_b32_e32 v19, 29, v16
	v_writelane_b32 v145, s1, 38
	v_not_b32_e32 v17, v19
	v_cmp_gt_i64_e64 s[0:1], 0, v[18:19]
	v_lshlrev_b32_e32 v19, 28, v16
	v_not_b32_e32 v21, v19
	v_cmp_gt_i64_e64 s[28:29], 0, v[18:19]
	v_lshlrev_b32_e32 v19, 27, v16
	;; [unrolled: 3-line block ×5, first 2 shown]
	v_ashrrev_i32_e32 v58, 31, v35
	v_not_b32_e32 v35, v19
	v_ashrrev_i32_e32 v50, 31, v27
	v_ashrrev_i32_e32 v52, 31, v29
	;; [unrolled: 1-line block ×38, first 2 shown]
	v_lshl_add_u64 v[2:3], v[140:141], 0, -1
	v_mov_b32_e32 v1, v20
	v_mov_b32_e32 v5, v22
	;; [unrolled: 1-line block ×7, first 2 shown]
	v_lshl_add_u64 v[126:127], v[148:149], 0, -1
	v_mov_b32_e32 v17, v30
	v_mov_b32_e32 v21, v32
	;; [unrolled: 1-line block ×7, first 2 shown]
	v_lshl_add_u64 v[128:129], v[138:139], 0, -1
	v_mov_b32_e32 v33, v44
	v_mov_b32_e32 v35, v46
	v_lshlrev_b32_e32 v12, 3, v12
	v_mov_b32_e32 v37, v48
	v_mov_b32_e32 v39, v50
	v_mov_b32_e32 v41, v52
	v_mov_b32_e32 v43, v54
	v_mov_b32_e32 v45, v56
	v_lshl_add_u64 v[130:131], v[152:153], 0, -1
	v_mov_b32_e32 v47, v58
	v_mov_b32_e32 v49, v60
	v_mov_b32_e32 v51, v62
	v_mov_b32_e32 v53, v64
	v_mov_b32_e32 v55, v66
	v_mov_b32_e32 v57, v68
	v_mov_b32_e32 v59, v70
	v_lshl_add_u64 v[132:133], v[146:147], 0, -1
	v_mov_b32_e32 v61, v72
	v_mov_b32_e32 v63, v74
	;; [unrolled: 8-line block ×3, first 2 shown]
	v_mov_b32_e32 v79, v90
	v_mov_b32_e32 v81, v92
	;; [unrolled: 1-line block ×5, first 2 shown]
	v_lshl_add_u64 v[136:137], v[150:151], 0, -1
	v_cmp_eq_u32_e64 s[10:11], 1, v140
	v_mov_b32_e32 v89, v100
	v_cmp_eq_u32_e64 s[12:13], 1, v148
	v_mov_b32_e32 v91, v102
	v_cmp_eq_u32_e64 s[14:15], 1, v138
	v_lshl_add_u64 v[138:139], v[156:157], 0, -1
	v_cmp_eq_u32_e64 s[18:19], 1, v152
	v_mov_b32_e32 v93, v104
	v_cmp_eq_u32_e64 s[20:21], 1, v146
	v_mov_b32_e32 v95, v106
	;; [unrolled: 2-line block ×4, first 2 shown]
	v_cmp_eq_u32_e64 s[26:27], 1, v156
	v_cmp_gt_i64_e64 s[30:31], 0, v[18:19]
	v_mov_b32_e32 v101, v112
	v_mov_b32_e32 v103, v114
	v_mov_b32_e32 v105, v116
	v_mov_b32_e32 v107, v118
	v_mov_b32_e32 v109, v120
	v_mov_b32_e32 v111, v122
	v_mov_b32_e32 v113, v124
	v_mov_b32_e32 v115, v14
	s_branch .LBB22_2
.LBB22_1:                               ;   in Loop: Header=BB22_2 Depth=1
	s_or_b64 exec, exec, s[2:3]
	s_add_i32 s33, s33, -1
	s_cmp_eq_u32 s33, 0
	s_waitcnt lgkmcnt(0)
	s_barrier
	s_cbranch_scc1 .LBB22_20
.LBB22_2:                               ; =>This Inner Loop Header: Depth=1
	s_and_saveexec_b64 s[2:3], s[16:17]
	s_cbranch_execz .LBB22_4
; %bb.3:                                ;   in Loop: Header=BB22_2 Depth=1
	v_mov_b32_e32 v19, v18
	ds_write_b64 v117, v[18:19]
.LBB22_4:                               ;   in Loop: Header=BB22_2 Depth=1
	s_or_b64 exec, exec, s[2:3]
	v_readlane_b32 s2, v145, 5
	v_cndmask_b32_e64 v4, 0, 1, s[10:11]
	v_readlane_b32 s3, v145, 6
	v_cmp_ne_u32_e32 vcc, 0, v4
	s_waitcnt lgkmcnt(0)
	v_cndmask_b32_e64 v16, 0, 1, s[2:3]
	v_xor_b32_e32 v4, vcc_hi, v3
	v_xor_b32_e32 v8, vcc_lo, v2
	v_cmp_ne_u32_e32 vcc, 0, v16
	v_readlane_b32 s2, v145, 7
	v_and_b32_e32 v4, exec_hi, v4
	v_xor_b32_e32 v16, vcc_hi, v1
	v_readlane_b32 s3, v145, 8
	v_and_b32_e32 v4, v4, v16
	v_xor_b32_e32 v19, vcc_lo, v20
	v_cndmask_b32_e64 v16, 0, 1, s[2:3]
	v_cmp_ne_u32_e32 vcc, 0, v16
	v_readlane_b32 s2, v145, 9
	v_readlane_b32 s3, v145, 10
	v_xor_b32_e32 v16, vcc_hi, v5
	v_and_b32_e32 v8, exec_lo, v8
	v_and_b32_e32 v4, v4, v16
	v_cndmask_b32_e64 v16, 0, 1, s[2:3]
	v_and_b32_e32 v8, v8, v19
	v_xor_b32_e32 v19, vcc_lo, v22
	v_cmp_ne_u32_e32 vcc, 0, v16
	v_readlane_b32 s2, v145, 11
	v_readlane_b32 s3, v145, 12
	v_xor_b32_e32 v16, vcc_hi, v7
	v_and_b32_e32 v4, v4, v16
	v_cndmask_b32_e64 v16, 0, 1, s[2:3]
	v_and_b32_e32 v8, v8, v19
	v_xor_b32_e32 v19, vcc_lo, v24
	v_cmp_ne_u32_e32 vcc, 0, v16
	v_readlane_b32 s2, v145, 13
	v_readlane_b32 s3, v145, 14
	v_xor_b32_e32 v16, vcc_hi, v9
	;; [unrolled: 8-line block ×4, first 2 shown]
	v_and_b32_e32 v4, v4, v16
	v_cndmask_b32_e64 v16, 0, 1, s[2:3]
	v_and_b32_e32 v8, v8, v19
	v_xor_b32_e32 v19, vcc_lo, v6
	v_cmp_ne_u32_e32 vcc, 0, v16
	v_and_b32_e32 v8, v8, v19
	s_barrier
	v_xor_b32_e32 v16, vcc_hi, v15
	v_xor_b32_e32 v140, vcc_lo, v10
	v_and_b32_e32 v19, v4, v16
	v_and_b32_e32 v4, v8, v140
	v_mbcnt_lo_u32_b32 v8, v4, 0
	v_mbcnt_hi_u32_b32 v8, v19, v8
	v_cmp_eq_u32_e32 vcc, 0, v8
	s_and_saveexec_b64 s[2:3], vcc
	s_cbranch_execz .LBB22_6
; %bb.5:                                ;   in Loop: Header=BB22_2 Depth=1
	v_bcnt_u32_b32 v4, v4, 0
	v_bcnt_u32_b32 v140, v19, v4
	v_mov_b32_e32 v141, v18
	ds_add_u64 v119, v[140:141]
.LBB22_6:                               ;   in Loop: Header=BB22_2 Depth=1
	s_or_b64 exec, exec, s[2:3]
	v_readlane_b32 s2, v145, 19
	v_cndmask_b32_e64 v4, 0, 1, s[12:13]
	v_readlane_b32 s3, v145, 20
	v_cmp_ne_u32_e32 vcc, 0, v4
	s_nop 0
	v_cndmask_b32_e64 v16, 0, 1, s[2:3]
	v_xor_b32_e32 v4, vcc_hi, v127
	v_xor_b32_e32 v8, vcc_lo, v126
	v_cmp_ne_u32_e32 vcc, 0, v16
	v_readlane_b32 s2, v145, 21
	v_and_b32_e32 v4, exec_hi, v4
	v_xor_b32_e32 v16, vcc_hi, v17
	v_readlane_b32 s3, v145, 22
	v_and_b32_e32 v4, v4, v16
	v_xor_b32_e32 v19, vcc_lo, v30
	v_cndmask_b32_e64 v16, 0, 1, s[2:3]
	v_cmp_ne_u32_e32 vcc, 0, v16
	v_readlane_b32 s2, v145, 23
	v_readlane_b32 s3, v145, 24
	v_xor_b32_e32 v16, vcc_hi, v21
	v_and_b32_e32 v8, exec_lo, v8
	v_and_b32_e32 v4, v4, v16
	v_cndmask_b32_e64 v16, 0, 1, s[2:3]
	v_and_b32_e32 v8, v8, v19
	v_xor_b32_e32 v19, vcc_lo, v32
	v_cmp_ne_u32_e32 vcc, 0, v16
	v_readlane_b32 s2, v145, 25
	v_readlane_b32 s3, v145, 26
	v_xor_b32_e32 v16, vcc_hi, v23
	v_and_b32_e32 v4, v4, v16
	v_cndmask_b32_e64 v16, 0, 1, s[2:3]
	v_and_b32_e32 v8, v8, v19
	v_xor_b32_e32 v19, vcc_lo, v34
	v_cmp_ne_u32_e32 vcc, 0, v16
	v_readlane_b32 s2, v145, 27
	v_readlane_b32 s3, v145, 28
	v_xor_b32_e32 v16, vcc_hi, v25
	;; [unrolled: 8-line block ×4, first 2 shown]
	v_and_b32_e32 v4, v4, v16
	v_cndmask_b32_e64 v16, 0, 1, s[2:3]
	v_and_b32_e32 v8, v8, v19
	v_xor_b32_e32 v19, vcc_lo, v40
	v_cmp_ne_u32_e32 vcc, 0, v16
	v_and_b32_e32 v8, v8, v19
	s_nop 0
	v_xor_b32_e32 v16, vcc_hi, v31
	v_xor_b32_e32 v140, vcc_lo, v42
	v_and_b32_e32 v19, v4, v16
	v_and_b32_e32 v4, v8, v140
	v_mbcnt_lo_u32_b32 v8, v4, 0
	v_mbcnt_hi_u32_b32 v8, v19, v8
	v_cmp_eq_u32_e32 vcc, 0, v8
	s_and_saveexec_b64 s[2:3], vcc
	s_cbranch_execz .LBB22_8
; %bb.7:                                ;   in Loop: Header=BB22_2 Depth=1
	v_bcnt_u32_b32 v4, v4, 0
	v_bcnt_u32_b32 v140, v19, v4
	v_mov_b32_e32 v141, v18
	ds_add_u64 v12, v[140:141]
.LBB22_8:                               ;   in Loop: Header=BB22_2 Depth=1
	s_or_b64 exec, exec, s[2:3]
	v_readlane_b32 s2, v145, 33
	v_cndmask_b32_e64 v4, 0, 1, s[14:15]
	v_readlane_b32 s3, v145, 34
	v_cmp_ne_u32_e32 vcc, 0, v4
	s_nop 0
	v_cndmask_b32_e64 v16, 0, 1, s[2:3]
	v_xor_b32_e32 v4, vcc_hi, v129
	v_xor_b32_e32 v8, vcc_lo, v128
	v_cmp_ne_u32_e32 vcc, 0, v16
	v_readlane_b32 s2, v145, 35
	v_and_b32_e32 v4, exec_hi, v4
	v_xor_b32_e32 v16, vcc_hi, v33
	v_readlane_b32 s3, v145, 36
	v_and_b32_e32 v4, v4, v16
	v_xor_b32_e32 v19, vcc_lo, v44
	v_cndmask_b32_e64 v16, 0, 1, s[2:3]
	v_cmp_ne_u32_e32 vcc, 0, v16
	v_readlane_b32 s2, v145, 37
	v_readlane_b32 s3, v145, 38
	v_xor_b32_e32 v16, vcc_hi, v35
	v_and_b32_e32 v8, exec_lo, v8
	v_and_b32_e32 v4, v4, v16
	v_cndmask_b32_e64 v16, 0, 1, s[2:3]
	v_and_b32_e32 v8, v8, v19
	v_xor_b32_e32 v19, vcc_lo, v46
	v_cmp_ne_u32_e32 vcc, 0, v16
	v_and_b32_e32 v8, v8, v19
	s_nop 0
	v_xor_b32_e32 v16, vcc_hi, v37
	v_and_b32_e32 v4, v4, v16
	v_cndmask_b32_e64 v16, 0, 1, s[34:35]
	v_xor_b32_e32 v19, vcc_lo, v48
	v_cmp_ne_u32_e32 vcc, 0, v16
	v_and_b32_e32 v8, v8, v19
	s_nop 0
	v_xor_b32_e32 v16, vcc_hi, v39
	v_and_b32_e32 v4, v4, v16
	v_cndmask_b32_e64 v16, 0, 1, s[36:37]
	;; [unrolled: 7-line block ×4, first 2 shown]
	v_xor_b32_e32 v19, vcc_lo, v54
	v_cmp_ne_u32_e32 vcc, 0, v16
	v_and_b32_e32 v8, v8, v19
	s_nop 0
	v_xor_b32_e32 v16, vcc_hi, v45
	v_xor_b32_e32 v140, vcc_lo, v56
	v_and_b32_e32 v19, v4, v16
	v_and_b32_e32 v4, v8, v140
	v_mbcnt_lo_u32_b32 v8, v4, 0
	v_mbcnt_hi_u32_b32 v8, v19, v8
	v_cmp_eq_u32_e32 vcc, 0, v8
	s_and_saveexec_b64 s[2:3], vcc
	s_cbranch_execz .LBB22_10
; %bb.9:                                ;   in Loop: Header=BB22_2 Depth=1
	v_bcnt_u32_b32 v4, v4, 0
	v_bcnt_u32_b32 v140, v19, v4
	v_mov_b32_e32 v141, v18
	ds_add_u64 v121, v[140:141]
.LBB22_10:                              ;   in Loop: Header=BB22_2 Depth=1
	s_or_b64 exec, exec, s[2:3]
	v_cndmask_b32_e64 v4, 0, 1, s[18:19]
	v_cmp_ne_u32_e32 vcc, 0, v4
	v_cndmask_b32_e64 v16, 0, 1, s[42:43]
	s_nop 0
	v_xor_b32_e32 v4, vcc_hi, v131
	v_xor_b32_e32 v8, vcc_lo, v130
	v_cmp_ne_u32_e32 vcc, 0, v16
	v_and_b32_e32 v4, exec_hi, v4
	v_and_b32_e32 v8, exec_lo, v8
	v_xor_b32_e32 v16, vcc_hi, v47
	v_and_b32_e32 v4, v4, v16
	v_cndmask_b32_e64 v16, 0, 1, s[44:45]
	v_xor_b32_e32 v19, vcc_lo, v58
	v_cmp_ne_u32_e32 vcc, 0, v16
	v_and_b32_e32 v8, v8, v19
	s_nop 0
	v_xor_b32_e32 v16, vcc_hi, v49
	v_and_b32_e32 v4, v4, v16
	v_cndmask_b32_e64 v16, 0, 1, s[46:47]
	v_xor_b32_e32 v19, vcc_lo, v60
	v_cmp_ne_u32_e32 vcc, 0, v16
	v_and_b32_e32 v8, v8, v19
	s_nop 0
	v_xor_b32_e32 v16, vcc_hi, v51
	v_and_b32_e32 v4, v4, v16
	v_cndmask_b32_e64 v16, 0, 1, s[48:49]
	v_xor_b32_e32 v19, vcc_lo, v62
	v_cmp_ne_u32_e32 vcc, 0, v16
	v_and_b32_e32 v8, v8, v19
	s_nop 0
	v_xor_b32_e32 v16, vcc_hi, v53
	v_and_b32_e32 v4, v4, v16
	v_cndmask_b32_e64 v16, 0, 1, s[50:51]
	v_xor_b32_e32 v19, vcc_lo, v64
	v_cmp_ne_u32_e32 vcc, 0, v16
	v_and_b32_e32 v8, v8, v19
	s_nop 0
	v_xor_b32_e32 v16, vcc_hi, v55
	v_and_b32_e32 v4, v4, v16
	v_cndmask_b32_e64 v16, 0, 1, s[52:53]
	v_xor_b32_e32 v19, vcc_lo, v66
	v_cmp_ne_u32_e32 vcc, 0, v16
	v_and_b32_e32 v8, v8, v19
	s_nop 0
	v_xor_b32_e32 v16, vcc_hi, v57
	v_and_b32_e32 v4, v4, v16
	v_cndmask_b32_e64 v16, 0, 1, s[54:55]
	v_xor_b32_e32 v19, vcc_lo, v68
	v_cmp_ne_u32_e32 vcc, 0, v16
	v_and_b32_e32 v8, v8, v19
	s_nop 0
	v_xor_b32_e32 v16, vcc_hi, v59
	v_xor_b32_e32 v140, vcc_lo, v70
	v_and_b32_e32 v19, v4, v16
	v_and_b32_e32 v4, v8, v140
	v_mbcnt_lo_u32_b32 v8, v4, 0
	v_mbcnt_hi_u32_b32 v8, v19, v8
	v_cmp_eq_u32_e32 vcc, 0, v8
	s_and_saveexec_b64 s[2:3], vcc
	s_cbranch_execz .LBB22_12
; %bb.11:                               ;   in Loop: Header=BB22_2 Depth=1
	v_bcnt_u32_b32 v4, v4, 0
	v_bcnt_u32_b32 v140, v19, v4
	v_mov_b32_e32 v141, v18
	ds_add_u64 v123, v[140:141]
.LBB22_12:                              ;   in Loop: Header=BB22_2 Depth=1
	s_or_b64 exec, exec, s[2:3]
	v_cndmask_b32_e64 v4, 0, 1, s[20:21]
	v_cmp_ne_u32_e32 vcc, 0, v4
	v_cndmask_b32_e64 v16, 0, 1, s[56:57]
	s_nop 0
	v_xor_b32_e32 v4, vcc_hi, v133
	v_xor_b32_e32 v8, vcc_lo, v132
	v_cmp_ne_u32_e32 vcc, 0, v16
	v_and_b32_e32 v4, exec_hi, v4
	v_and_b32_e32 v8, exec_lo, v8
	v_xor_b32_e32 v16, vcc_hi, v61
	v_and_b32_e32 v4, v4, v16
	v_cndmask_b32_e64 v16, 0, 1, s[58:59]
	v_xor_b32_e32 v19, vcc_lo, v72
	v_cmp_ne_u32_e32 vcc, 0, v16
	v_and_b32_e32 v8, v8, v19
	s_nop 0
	v_xor_b32_e32 v16, vcc_hi, v63
	v_and_b32_e32 v4, v4, v16
	v_cndmask_b32_e64 v16, 0, 1, s[60:61]
	v_xor_b32_e32 v19, vcc_lo, v74
	v_cmp_ne_u32_e32 vcc, 0, v16
	v_and_b32_e32 v8, v8, v19
	s_nop 0
	;; [unrolled: 7-line block ×6, first 2 shown]
	v_xor_b32_e32 v16, vcc_hi, v73
	v_xor_b32_e32 v140, vcc_lo, v84
	v_and_b32_e32 v19, v4, v16
	v_and_b32_e32 v4, v8, v140
	v_mbcnt_lo_u32_b32 v8, v4, 0
	v_mbcnt_hi_u32_b32 v8, v19, v8
	v_cmp_eq_u32_e32 vcc, 0, v8
	s_and_saveexec_b64 s[2:3], vcc
	s_cbranch_execz .LBB22_14
; %bb.13:                               ;   in Loop: Header=BB22_2 Depth=1
	v_bcnt_u32_b32 v4, v4, 0
	v_bcnt_u32_b32 v140, v19, v4
	v_mov_b32_e32 v141, v18
	ds_add_u64 v125, v[140:141]
.LBB22_14:                              ;   in Loop: Header=BB22_2 Depth=1
	s_or_b64 exec, exec, s[2:3]
	v_cndmask_b32_e64 v4, 0, 1, s[22:23]
	v_cmp_ne_u32_e32 vcc, 0, v4
	v_cndmask_b32_e64 v16, 0, 1, s[70:71]
	s_nop 0
	v_xor_b32_e32 v4, vcc_hi, v135
	v_xor_b32_e32 v8, vcc_lo, v134
	v_cmp_ne_u32_e32 vcc, 0, v16
	v_and_b32_e32 v4, exec_hi, v4
	v_and_b32_e32 v8, exec_lo, v8
	v_xor_b32_e32 v16, vcc_hi, v75
	v_and_b32_e32 v4, v4, v16
	v_cndmask_b32_e64 v16, 0, 1, s[72:73]
	v_xor_b32_e32 v19, vcc_lo, v86
	v_cmp_ne_u32_e32 vcc, 0, v16
	v_and_b32_e32 v8, v8, v19
	s_nop 0
	v_xor_b32_e32 v16, vcc_hi, v77
	v_and_b32_e32 v4, v4, v16
	v_cndmask_b32_e64 v16, 0, 1, s[74:75]
	v_xor_b32_e32 v19, vcc_lo, v88
	v_cmp_ne_u32_e32 vcc, 0, v16
	v_and_b32_e32 v8, v8, v19
	s_nop 0
	;; [unrolled: 7-line block ×6, first 2 shown]
	v_xor_b32_e32 v16, vcc_hi, v87
	v_xor_b32_e32 v140, vcc_lo, v98
	v_and_b32_e32 v19, v4, v16
	v_and_b32_e32 v4, v8, v140
	v_mbcnt_lo_u32_b32 v8, v4, 0
	v_mbcnt_hi_u32_b32 v8, v19, v8
	v_cmp_eq_u32_e32 vcc, 0, v8
	s_and_saveexec_b64 s[2:3], vcc
	s_cbranch_execz .LBB22_16
; %bb.15:                               ;   in Loop: Header=BB22_2 Depth=1
	v_bcnt_u32_b32 v4, v4, 0
	v_bcnt_u32_b32 v140, v19, v4
	v_mov_b32_e32 v141, v18
	ds_add_u64 v142, v[140:141]
.LBB22_16:                              ;   in Loop: Header=BB22_2 Depth=1
	s_or_b64 exec, exec, s[2:3]
	v_cndmask_b32_e64 v4, 0, 1, s[24:25]
	v_cmp_ne_u32_e32 vcc, 0, v4
	v_cndmask_b32_e64 v16, 0, 1, s[84:85]
	s_nop 0
	v_xor_b32_e32 v4, vcc_hi, v137
	v_xor_b32_e32 v8, vcc_lo, v136
	v_cmp_ne_u32_e32 vcc, 0, v16
	v_and_b32_e32 v4, exec_hi, v4
	v_and_b32_e32 v8, exec_lo, v8
	v_xor_b32_e32 v16, vcc_hi, v89
	v_and_b32_e32 v4, v4, v16
	v_cndmask_b32_e64 v16, 0, 1, s[86:87]
	v_xor_b32_e32 v19, vcc_lo, v100
	v_cmp_ne_u32_e32 vcc, 0, v16
	v_and_b32_e32 v8, v8, v19
	s_nop 0
	v_xor_b32_e32 v16, vcc_hi, v91
	v_and_b32_e32 v4, v4, v16
	v_cndmask_b32_e64 v16, 0, 1, s[88:89]
	v_xor_b32_e32 v19, vcc_lo, v102
	v_cmp_ne_u32_e32 vcc, 0, v16
	v_and_b32_e32 v8, v8, v19
	s_nop 0
	;; [unrolled: 7-line block ×6, first 2 shown]
	v_xor_b32_e32 v16, vcc_hi, v101
	v_xor_b32_e32 v140, vcc_lo, v112
	v_and_b32_e32 v19, v4, v16
	v_and_b32_e32 v4, v8, v140
	v_mbcnt_lo_u32_b32 v8, v4, 0
	v_mbcnt_hi_u32_b32 v8, v19, v8
	v_cmp_eq_u32_e32 vcc, 0, v8
	s_and_saveexec_b64 s[2:3], vcc
	s_cbranch_execz .LBB22_18
; %bb.17:                               ;   in Loop: Header=BB22_2 Depth=1
	v_bcnt_u32_b32 v4, v4, 0
	v_bcnt_u32_b32 v140, v19, v4
	v_mov_b32_e32 v141, v18
	ds_add_u64 v143, v[140:141]
.LBB22_18:                              ;   in Loop: Header=BB22_2 Depth=1
	s_or_b64 exec, exec, s[2:3]
	v_cndmask_b32_e64 v4, 0, 1, s[26:27]
	v_cmp_ne_u32_e32 vcc, 0, v4
	v_cndmask_b32_e64 v16, 0, 1, s[98:99]
	s_nop 0
	v_xor_b32_e32 v4, vcc_hi, v139
	v_xor_b32_e32 v8, vcc_lo, v138
	v_cmp_ne_u32_e32 vcc, 0, v16
	v_and_b32_e32 v4, exec_hi, v4
	v_and_b32_e32 v8, exec_lo, v8
	v_xor_b32_e32 v16, vcc_hi, v103
	v_and_b32_e32 v4, v4, v16
	v_cndmask_b32_e64 v16, 0, 1, s[0:1]
	v_xor_b32_e32 v19, vcc_lo, v114
	v_cmp_ne_u32_e32 vcc, 0, v16
	v_and_b32_e32 v8, v8, v19
	s_nop 0
	v_xor_b32_e32 v16, vcc_hi, v105
	v_and_b32_e32 v4, v4, v16
	v_cndmask_b32_e64 v16, 0, 1, s[28:29]
	v_xor_b32_e32 v19, vcc_lo, v116
	v_cmp_ne_u32_e32 vcc, 0, v16
	v_and_b32_e32 v8, v8, v19
	s_nop 0
	;; [unrolled: 7-line block ×6, first 2 shown]
	v_xor_b32_e32 v16, vcc_hi, v115
	v_xor_b32_e32 v140, vcc_lo, v14
	v_and_b32_e32 v19, v4, v16
	v_and_b32_e32 v4, v8, v140
	v_mbcnt_lo_u32_b32 v8, v4, 0
	v_mbcnt_hi_u32_b32 v8, v19, v8
	v_cmp_eq_u32_e32 vcc, 0, v8
	s_and_saveexec_b64 s[2:3], vcc
	s_cbranch_execz .LBB22_1
; %bb.19:                               ;   in Loop: Header=BB22_2 Depth=1
	v_bcnt_u32_b32 v4, v4, 0
	v_bcnt_u32_b32 v140, v19, v4
	v_mov_b32_e32 v141, v18
	ds_add_u64 v144, v[140:141]
	s_branch .LBB22_1
.LBB22_20:
	s_and_saveexec_b64 s[0:1], s[16:17]
	s_cbranch_execz .LBB22_22
; %bb.21:
	ds_read_b64 v[4:5], v117
	v_readlane_b32 s0, v145, 0
	v_readlane_b32 s2, v145, 2
	v_readlane_b32 s3, v145, 3
	v_readlane_b32 s0, v145, 4
	v_mov_b32_e32 v2, s2
	v_mov_b32_e32 v3, s3
	v_lshl_or_b32 v0, s0, 8, v0
	v_mov_b32_e32 v1, 0
	v_lshl_add_u64 v[0:1], v[0:1], 3, v[2:3]
	v_readlane_b32 s1, v145, 1
	s_waitcnt lgkmcnt(0)
	global_store_dwordx2 v[0:1], v[4:5], off
.LBB22_22:
	s_endpgm
	.section	.rodata,"a",@progbits
	.p2align	6, 0x0
	.amdhsa_kernel _Z6kernelI9histogramILN6hipcub23BlockHistogramAlgorithmE0EEyLj256ELj8ELj256ELj100EEvPKT0_PS4_
		.amdhsa_group_segment_fixed_size 2048
		.amdhsa_private_segment_fixed_size 0
		.amdhsa_kernarg_size 16
		.amdhsa_user_sgpr_count 2
		.amdhsa_user_sgpr_dispatch_ptr 0
		.amdhsa_user_sgpr_queue_ptr 0
		.amdhsa_user_sgpr_kernarg_segment_ptr 1
		.amdhsa_user_sgpr_dispatch_id 0
		.amdhsa_user_sgpr_kernarg_preload_length 0
		.amdhsa_user_sgpr_kernarg_preload_offset 0
		.amdhsa_user_sgpr_private_segment_size 0
		.amdhsa_uses_dynamic_stack 0
		.amdhsa_enable_private_segment 0
		.amdhsa_system_sgpr_workgroup_id_x 1
		.amdhsa_system_sgpr_workgroup_id_y 0
		.amdhsa_system_sgpr_workgroup_id_z 0
		.amdhsa_system_sgpr_workgroup_info 0
		.amdhsa_system_vgpr_workitem_id 0
		.amdhsa_next_free_vgpr 158
		.amdhsa_next_free_sgpr 100
		.amdhsa_accum_offset 160
		.amdhsa_reserve_vcc 1
		.amdhsa_float_round_mode_32 0
		.amdhsa_float_round_mode_16_64 0
		.amdhsa_float_denorm_mode_32 3
		.amdhsa_float_denorm_mode_16_64 3
		.amdhsa_dx10_clamp 1
		.amdhsa_ieee_mode 1
		.amdhsa_fp16_overflow 0
		.amdhsa_tg_split 0
		.amdhsa_exception_fp_ieee_invalid_op 0
		.amdhsa_exception_fp_denorm_src 0
		.amdhsa_exception_fp_ieee_div_zero 0
		.amdhsa_exception_fp_ieee_overflow 0
		.amdhsa_exception_fp_ieee_underflow 0
		.amdhsa_exception_fp_ieee_inexact 0
		.amdhsa_exception_int_div_zero 0
	.end_amdhsa_kernel
	.section	.text._Z6kernelI9histogramILN6hipcub23BlockHistogramAlgorithmE0EEyLj256ELj8ELj256ELj100EEvPKT0_PS4_,"axG",@progbits,_Z6kernelI9histogramILN6hipcub23BlockHistogramAlgorithmE0EEyLj256ELj8ELj256ELj100EEvPKT0_PS4_,comdat
.Lfunc_end22:
	.size	_Z6kernelI9histogramILN6hipcub23BlockHistogramAlgorithmE0EEyLj256ELj8ELj256ELj100EEvPKT0_PS4_, .Lfunc_end22-_Z6kernelI9histogramILN6hipcub23BlockHistogramAlgorithmE0EEyLj256ELj8ELj256ELj100EEvPKT0_PS4_
                                        ; -- End function
	.section	.AMDGPU.csdata,"",@progbits
; Kernel info:
; codeLenInByte = 4868
; NumSgprs: 106
; NumVgprs: 158
; NumAgprs: 0
; TotalNumVgprs: 158
; ScratchSize: 0
; MemoryBound: 0
; FloatMode: 240
; IeeeMode: 1
; LDSByteSize: 2048 bytes/workgroup (compile time only)
; SGPRBlocks: 13
; VGPRBlocks: 19
; NumSGPRsForWavesPerEU: 106
; NumVGPRsForWavesPerEU: 158
; AccumOffset: 160
; Occupancy: 3
; WaveLimiterHint : 0
; COMPUTE_PGM_RSRC2:SCRATCH_EN: 0
; COMPUTE_PGM_RSRC2:USER_SGPR: 2
; COMPUTE_PGM_RSRC2:TRAP_HANDLER: 0
; COMPUTE_PGM_RSRC2:TGID_X_EN: 1
; COMPUTE_PGM_RSRC2:TGID_Y_EN: 0
; COMPUTE_PGM_RSRC2:TGID_Z_EN: 0
; COMPUTE_PGM_RSRC2:TIDIG_COMP_CNT: 0
; COMPUTE_PGM_RSRC3_GFX90A:ACCUM_OFFSET: 39
; COMPUTE_PGM_RSRC3_GFX90A:TG_SPLIT: 0
	.section	.text._Z6kernelI9histogramILN6hipcub23BlockHistogramAlgorithmE0EEyLj256ELj16ELj256ELj100EEvPKT0_PS4_,"axG",@progbits,_Z6kernelI9histogramILN6hipcub23BlockHistogramAlgorithmE0EEyLj256ELj16ELj256ELj100EEvPKT0_PS4_,comdat
	.protected	_Z6kernelI9histogramILN6hipcub23BlockHistogramAlgorithmE0EEyLj256ELj16ELj256ELj100EEvPKT0_PS4_ ; -- Begin function _Z6kernelI9histogramILN6hipcub23BlockHistogramAlgorithmE0EEyLj256ELj16ELj256ELj100EEvPKT0_PS4_
	.globl	_Z6kernelI9histogramILN6hipcub23BlockHistogramAlgorithmE0EEyLj256ELj16ELj256ELj100EEvPKT0_PS4_
	.p2align	8
	.type	_Z6kernelI9histogramILN6hipcub23BlockHistogramAlgorithmE0EEyLj256ELj16ELj256ELj100EEvPKT0_PS4_,@function
_Z6kernelI9histogramILN6hipcub23BlockHistogramAlgorithmE0EEyLj256ELj16ELj256ELj100EEvPKT0_PS4_: ; @_Z6kernelI9histogramILN6hipcub23BlockHistogramAlgorithmE0EEyLj256ELj16ELj256ELj100EEvPKT0_PS4_
; %bb.0:
	s_load_dwordx4 s[4:7], s[0:1], 0x0
	v_lshlrev_b32_e32 v2, 4, v0
                                        ; implicit-def: $vgpr253 : SGPR spill to VGPR lane
	v_mov_b32_e32 v34, 0
	v_lshl_or_b32 v2, s2, 12, v2
	v_mov_b32_e32 v3, v34
	s_waitcnt lgkmcnt(0)
	v_mov_b32_e32 v4, s4
	v_writelane_b32 v253, s4, 0
                                        ; implicit-def: $vgpr254 : SGPR spill to VGPR lane
                                        ; implicit-def: $vgpr255 : SGPR spill to VGPR lane
	v_mov_b32_e32 v167, v34
	v_mov_b32_e32 v169, v34
	v_mov_b32_e32 v5, s5
	v_lshl_add_u64 v[30:31], v[2:3], 3, v[4:5]
	global_load_dwordx4 v[14:17], v[30:31], off
	global_load_dwordx4 v[10:13], v[30:31], off offset:16
	global_load_dwordx4 v[2:5], v[30:31], off offset:48
	;; [unrolled: 1-line block ×3, first 2 shown]
	v_writelane_b32 v253, s5, 1
	v_writelane_b32 v253, s6, 2
	;; [unrolled: 1-line block ×4, first 2 shown]
	global_load_dwordx4 v[18:21], v[30:31], off offset:64
	global_load_dwordx4 v[22:25], v[30:31], off offset:80
	v_mov_b32_e32 v171, v34
	v_mov_b32_e32 v173, v34
	;; [unrolled: 1-line block ×10, first 2 shown]
	v_lshlrev_b32_e32 v133, 3, v0
	s_movk_i32 s2, 0x100
	v_accvgpr_write_b32 a0, v0
	v_cmp_gt_u32_e64 s[62:63], s2, v0
	v_mov_b32_e32 v0, v133
	s_movk_i32 s33, 0x64
	s_waitcnt vmcnt(5)
	v_lshlrev_b32_e32 v35, 30, v14
	v_cmp_gt_i64_e64 s[0:1], 0, v[34:35]
	v_not_b32_e32 v1, v35
	v_lshlrev_b32_e32 v35, 29, v14
	v_writelane_b32 v253, s0, 5
	v_not_b32_e32 v37, v35
	v_ashrrev_i32_e32 v46, 31, v1
	v_writelane_b32 v253, s1, 6
	v_cmp_gt_i64_e64 s[0:1], 0, v[34:35]
	v_lshlrev_b32_e32 v35, 28, v14
	v_not_b32_e32 v42, v35
	v_writelane_b32 v253, s0, 7
	v_accvgpr_write_b32 a4, v46
	v_ashrrev_i32_e32 v46, 31, v37
	v_writelane_b32 v253, s1, 8
	v_cmp_gt_i64_e64 s[0:1], 0, v[34:35]
	v_lshlrev_b32_e32 v35, 27, v14
	v_not_b32_e32 v44, v35
	v_writelane_b32 v253, s0, 9
	v_ashrrev_i32_e32 v42, 31, v42
	v_accvgpr_write_b32 a18, v42
	v_writelane_b32 v253, s1, 10
	v_cmp_gt_i64_e64 s[0:1], 0, v[34:35]
	v_lshlrev_b32_e32 v35, 26, v14
	s_waitcnt vmcnt(3)
	v_not_b32_e32 v3, v35
	v_writelane_b32 v253, s0, 11
	v_ashrrev_i32_e32 v42, 31, v44
	v_ashrrev_i32_e32 v44, 31, v3
	v_writelane_b32 v253, s1, 12
	v_cmp_gt_i64_e64 s[0:1], 0, v[34:35]
	v_lshlrev_b32_e32 v35, 25, v14
	s_waitcnt vmcnt(2)
	v_not_b32_e32 v9, v35
	v_writelane_b32 v253, s0, 13
	v_accvgpr_write_b32 a6, v46
	v_ashrrev_i32_e32 v46, 31, v9
	v_writelane_b32 v253, s1, 14
	v_cmp_gt_i64_e64 s[0:1], 0, v[34:35]
	v_lshlrev_b32_e32 v35, 24, v14
	v_not_b32_e32 v39, v35
	v_writelane_b32 v253, s0, 15
	v_ashrrev_i32_e32 v48, 31, v39
	v_lshlrev_b32_e32 v39, 3, v14
	v_writelane_b32 v253, s1, 16
	v_cmp_gt_i64_e64 s[0:1], 0, v[34:35]
	v_lshlrev_b32_e32 v35, 30, v16
	v_not_b32_e32 v43, v35
	v_writelane_b32 v253, s0, 17
	v_accvgpr_write_b32 a1, v39
	v_ashrrev_i32_e32 v50, 31, v43
	v_writelane_b32 v253, s1, 18
	v_cmp_gt_i64_e64 s[0:1], 0, v[34:35]
	v_lshlrev_b32_e32 v35, 29, v16
	v_not_b32_e32 v45, v35
	v_writelane_b32 v253, s0, 19
	v_ashrrev_i32_e32 v52, 31, v45
	v_lshlrev_b32_e32 v57, 3, v16
	v_writelane_b32 v253, s1, 20
	v_cmp_gt_i64_e64 s[0:1], 0, v[34:35]
	v_lshlrev_b32_e32 v35, 28, v16
	v_not_b32_e32 v47, v35
	v_writelane_b32 v253, s0, 21
	v_ashrrev_i32_e32 v54, 31, v47
	v_accvgpr_write_b32 a3, v57
	v_writelane_b32 v253, s1, 22
	v_cmp_gt_i64_e64 s[0:1], 0, v[34:35]
	v_lshlrev_b32_e32 v35, 27, v16
	v_not_b32_e32 v49, v35
	v_writelane_b32 v253, s0, 23
	v_ashrrev_i32_e32 v56, 31, v49
	v_and_b32_e32 v180, 1, v2
	v_writelane_b32 v253, s1, 24
	v_cmp_gt_i64_e64 s[0:1], 0, v[34:35]
	v_lshlrev_b32_e32 v35, 26, v16
	v_not_b32_e32 v51, v35
	v_writelane_b32 v253, s0, 25
	v_ashrrev_i32_e32 v58, 31, v51
	v_and_b32_e32 v184, 1, v4
	;; [unrolled: 7-line block ×7, first 2 shown]
	v_writelane_b32 v253, s1, 36
	v_cmp_gt_i64_e64 s[0:1], 0, v[34:35]
	v_lshlrev_b32_e32 v35, 27, v10
	v_not_b32_e32 v26, v35
	v_writelane_b32 v253, s0, 37
	v_ashrrev_i32_e32 v70, 31, v26
	global_load_dwordx4 v[26:29], v[30:31], off offset:96
	v_writelane_b32 v253, s1, 38
	v_cmp_gt_i64_e64 s[0:1], 0, v[34:35]
	v_lshlrev_b32_e32 v35, 26, v10
	v_not_b32_e32 v71, v35
	v_writelane_b32 v253, s0, 39
	v_ashrrev_i32_e32 v72, 31, v71
	v_lshlrev_b32_e32 v71, 3, v10
	v_writelane_b32 v253, s1, 40
	v_cmp_gt_i64_e64 s[0:1], 0, v[34:35]
	v_lshlrev_b32_e32 v35, 25, v10
	v_not_b32_e32 v67, v35
	v_writelane_b32 v253, s0, 41
	v_ashrrev_i32_e32 v74, 31, v67
	v_accvgpr_write_b32 a5, v71
	v_writelane_b32 v253, s1, 42
	v_cmp_gt_i64_e64 s[0:1], 0, v[34:35]
	v_lshlrev_b32_e32 v35, 24, v10
	v_not_b32_e32 v69, v35
	v_writelane_b32 v253, s0, 43
	v_ashrrev_i32_e32 v76, 31, v69
	s_waitcnt vmcnt(2)
	v_and_b32_e32 v186, 1, v18
	v_writelane_b32 v253, s1, 44
	v_cmp_gt_i64_e64 s[0:1], 0, v[34:35]
	v_lshlrev_b32_e32 v35, 30, v12
	v_not_b32_e32 v73, v35
	v_writelane_b32 v253, s0, 45
	v_ashrrev_i32_e32 v78, 31, v73
	v_and_b32_e32 v190, 1, v20
	v_writelane_b32 v253, s1, 46
	v_cmp_gt_i64_e64 s[0:1], 0, v[34:35]
	v_lshlrev_b32_e32 v35, 29, v12
	v_not_b32_e32 v80, v35
	v_writelane_b32 v253, s0, 47
	v_and_b32_e32 v174, 1, v6
	s_waitcnt vmcnt(1)
	v_and_b32_e32 v192, 1, v22
	v_writelane_b32 v253, s1, 48
	v_cmp_gt_i64_e64 s[0:1], 0, v[34:35]
	v_lshlrev_b32_e32 v35, 28, v12
	v_not_b32_e32 v82, v35
	v_writelane_b32 v253, s0, 49
	v_ashrrev_i32_e32 v80, 31, v80
	v_ashrrev_i32_e32 v82, 31, v82
	v_writelane_b32 v253, s1, 50
	v_cmp_gt_i64_e64 s[0:1], 0, v[34:35]
	v_lshlrev_b32_e32 v35, 27, v12
	v_not_b32_e32 v83, v35
	v_writelane_b32 v253, s0, 51
	v_ashrrev_i32_e32 v84, 31, v83
	v_lshlrev_b32_e32 v83, 3, v12
	v_writelane_b32 v253, s1, 52
	v_cmp_gt_i64_e64 s[0:1], 0, v[34:35]
	v_lshlrev_b32_e32 v35, 26, v12
	v_not_b32_e32 v75, v35
	v_writelane_b32 v253, s0, 53
	v_ashrrev_i32_e32 v86, 31, v75
	v_accvgpr_write_b32 a7, v83
	v_writelane_b32 v253, s1, 54
	v_cmp_gt_i64_e64 s[0:1], 0, v[34:35]
	v_lshlrev_b32_e32 v35, 25, v12
	v_not_b32_e32 v77, v35
	v_writelane_b32 v253, s0, 55
	v_ashrrev_i32_e32 v88, 31, v77
	v_lshl_add_u64 v[150:151], v[166:167], 0, -1
	v_writelane_b32 v253, s1, 56
	v_cmp_gt_i64_e64 s[0:1], 0, v[34:35]
	v_lshlrev_b32_e32 v35, 24, v12
	v_not_b32_e32 v79, v35
	v_writelane_b32 v253, s0, 57
	v_ashrrev_i32_e32 v90, 31, v79
	v_lshl_add_u64 v[152:153], v[168:169], 0, -1
	;; [unrolled: 7-line block ×5, first 2 shown]
	v_writelane_b32 v254, s1, 0
	v_cmp_gt_i64_e64 s[0:1], 0, v[34:35]
	v_lshlrev_b32_e32 v35, 27, v6
	v_not_b32_e32 v32, v35
	v_writelane_b32 v254, s0, 1
	v_ashrrev_i32_e32 v98, 31, v32
	global_load_dwordx4 v[30:33], v[30:31], off offset:112
	v_writelane_b32 v254, s1, 2
	v_cmp_gt_i64_e64 s[0:1], 0, v[34:35]
	v_lshlrev_b32_e32 v35, 26, v6
	v_not_b32_e32 v36, v35
	v_writelane_b32 v254, s0, 3
	v_ashrrev_i32_e32 v100, 31, v36
	v_lshlrev_b32_e32 v36, 3, v6
	v_writelane_b32 v254, s1, 4
	v_cmp_gt_i64_e64 s[0:1], 0, v[34:35]
	v_lshlrev_b32_e32 v35, 25, v6
	v_not_b32_e32 v38, v35
	v_writelane_b32 v254, s0, 5
	v_accvgpr_write_b32 a8, v36
	v_lshlrev_b32_e32 v36, 3, v8
	v_writelane_b32 v254, s1, 6
	v_cmp_gt_i64_e64 s[0:1], 0, v[34:35]
	v_lshlrev_b32_e32 v35, 24, v6
	v_not_b32_e32 v40, v35
	v_writelane_b32 v254, s0, 7
	v_accvgpr_write_b32 a9, v36
	v_lshlrev_b32_e32 v36, 3, v2
	v_writelane_b32 v254, s1, 8
	v_cmp_gt_i64_e64 s[0:1], 0, v[34:35]
	v_lshlrev_b32_e32 v35, 30, v8
	v_not_b32_e32 v41, v35
	v_writelane_b32 v254, s0, 9
	v_accvgpr_write_b32 a10, v36
	v_lshlrev_b32_e32 v36, 3, v4
	v_writelane_b32 v254, s1, 10
	v_cmp_gt_i64_e64 s[0:1], 0, v[34:35]
	v_lshlrev_b32_e32 v35, 29, v8
	v_not_b32_e32 v61, v35
	v_writelane_b32 v254, s0, 11
	v_ashrrev_i32_e32 v108, 31, v61
	v_accvgpr_write_b32 a11, v36
	v_writelane_b32 v254, s1, 12
	v_cmp_gt_i64_e64 s[0:1], 0, v[34:35]
	v_lshlrev_b32_e32 v35, 28, v8
	v_not_b32_e32 v5, v35
	v_writelane_b32 v254, s0, 13
	v_lshlrev_b32_e32 v36, 3, v18
	v_accvgpr_write_b32 a12, v36
	v_writelane_b32 v254, s1, 14
	v_cmp_gt_i64_e64 s[0:1], 0, v[34:35]
	v_lshlrev_b32_e32 v35, 27, v8
	v_not_b32_e32 v7, v35
	v_writelane_b32 v254, s0, 15
	v_lshlrev_b32_e32 v36, 3, v20
	v_accvgpr_write_b32 a13, v36
	v_writelane_b32 v254, s1, 16
	v_cmp_gt_i64_e64 s[0:1], 0, v[34:35]
	v_lshlrev_b32_e32 v35, 26, v8
	v_not_b32_e32 v110, v35
	v_writelane_b32 v254, s0, 17
	v_lshlrev_b32_e32 v36, 3, v22
	v_accvgpr_write_b32 a14, v36
	v_writelane_b32 v254, s1, 18
	v_cmp_gt_i64_e64 s[0:1], 0, v[34:35]
	v_lshlrev_b32_e32 v35, 25, v8
	v_not_b32_e32 v11, v35
	v_writelane_b32 v254, s0, 19
	v_ashrrev_i32_e32 v10, 31, v11
	v_lshlrev_b32_e32 v36, 3, v24
	v_writelane_b32 v254, s1, 20
	v_cmp_gt_i64_e64 s[0:1], 0, v[34:35]
	v_lshlrev_b32_e32 v35, 24, v8
	v_not_b32_e32 v13, v35
	v_writelane_b32 v254, s0, 21
	v_ashrrev_i32_e32 v8, 31, v13
	v_accvgpr_write_b32 a15, v36
	v_writelane_b32 v254, s1, 22
	v_cmp_gt_i64_e64 s[0:1], 0, v[34:35]
	v_lshlrev_b32_e32 v35, 30, v2
	v_not_b32_e32 v23, v35
	v_writelane_b32 v254, s0, 23
	v_ashrrev_i32_e32 v12, 31, v23
	s_waitcnt vmcnt(1)
	v_lshlrev_b32_e32 v36, 3, v26
	v_writelane_b32 v254, s1, 24
	v_cmp_gt_i64_e64 s[0:1], 0, v[34:35]
	v_lshlrev_b32_e32 v35, 29, v2
	v_not_b32_e32 v19, v35
	v_writelane_b32 v254, s0, 25
	v_ashrrev_i32_e32 v14, 31, v19
	v_accvgpr_write_b32 a20, v8
	v_writelane_b32 v254, s1, 26
	v_cmp_gt_i64_e64 s[0:1], 0, v[34:35]
	v_lshlrev_b32_e32 v35, 28, v2
	v_not_b32_e32 v15, v35
	v_writelane_b32 v254, s0, 27
	v_ashrrev_i32_e32 v16, 31, v15
	s_waitcnt vmcnt(0)
	v_lshlrev_b32_e32 v8, 3, v30
	v_writelane_b32 v254, s1, 28
	v_cmp_gt_i64_e64 s[0:1], 0, v[34:35]
	v_lshlrev_b32_e32 v35, 27, v2
	v_not_b32_e32 v17, v35
	v_writelane_b32 v254, s0, 29
	v_accvgpr_write_b32 a16, v36
	v_lshlrev_b32_e32 v36, 3, v28
	v_writelane_b32 v254, s1, 30
	v_cmp_gt_i64_e64 s[0:1], 0, v[34:35]
	v_lshlrev_b32_e32 v35, 26, v2
	v_not_b32_e32 v21, v35
	v_writelane_b32 v254, s0, 31
	v_accvgpr_write_b32 a19, v8
	v_lshlrev_b32_e32 v8, 3, v32
	v_writelane_b32 v254, s1, 32
	v_cmp_gt_i64_e64 s[0:1], 0, v[34:35]
	v_lshlrev_b32_e32 v35, 25, v2
	v_not_b32_e32 v37, v35
	v_writelane_b32 v254, s0, 33
	v_ashrrev_i32_e32 v102, 31, v38
	v_ashrrev_i32_e32 v104, 31, v40
	v_writelane_b32 v254, s1, 34
	v_cmp_gt_i64_e64 s[0:1], 0, v[34:35]
	v_lshlrev_b32_e32 v35, 24, v2
	v_not_b32_e32 v1, v35
	v_writelane_b32 v254, s0, 35
	v_ashrrev_i32_e32 v2, 31, v5
	v_ashrrev_i32_e32 v106, 31, v41
	v_writelane_b32 v254, s1, 36
	v_cmp_gt_i64_e64 s[0:1], 0, v[34:35]
	v_lshlrev_b32_e32 v35, 30, v4
	v_not_b32_e32 v3, v35
	v_writelane_b32 v254, s0, 37
	v_accvgpr_write_b32 a17, v36
	v_and_b32_e32 v40, 1, v24
	v_writelane_b32 v254, s1, 38
	v_cmp_gt_i64_e64 s[0:1], 0, v[34:35]
	v_lshlrev_b32_e32 v35, 29, v4
	v_not_b32_e32 v9, v35
	v_writelane_b32 v254, s0, 39
	v_and_b32_e32 v38, 1, v26
	v_and_b32_e32 v36, 1, v28
	v_writelane_b32 v254, s1, 40
	v_cmp_gt_i64_e64 s[0:1], 0, v[34:35]
	v_lshlrev_b32_e32 v35, 28, v4
	v_not_b32_e32 v25, v35
	v_writelane_b32 v254, s0, 41
	v_accvgpr_write_b32 a21, v8
	v_and_b32_e32 v8, 1, v30
	v_writelane_b32 v254, s1, 42
	v_cmp_gt_i64_e64 s[0:1], 0, v[34:35]
	v_lshlrev_b32_e32 v35, 27, v4
	v_not_b32_e32 v39, v35
	v_writelane_b32 v254, s0, 43
	v_and_b32_e32 v210, 1, v32
	v_mov_b32_e32 v41, v34
	v_writelane_b32 v254, s1, 44
	v_cmp_gt_i64_e64 s[0:1], 0, v[34:35]
	v_lshlrev_b32_e32 v35, 26, v4
	v_not_b32_e32 v43, v35
	v_writelane_b32 v254, s0, 45
	v_ashrrev_i32_e32 v6, 31, v110
	v_ashrrev_i32_e32 v110, 31, v43
	v_writelane_b32 v254, s1, 46
	v_cmp_gt_i64_e64 s[0:1], 0, v[34:35]
	v_lshlrev_b32_e32 v35, 25, v4
	v_not_b32_e32 v45, v35
	v_writelane_b32 v254, s0, 47
	v_ashrrev_i32_e32 v112, 31, v45
	v_lshl_add_u64 v[160:161], v[178:179], 0, -1
	v_writelane_b32 v254, s1, 48
	v_cmp_gt_i64_e64 s[0:1], 0, v[34:35]
	v_lshlrev_b32_e32 v35, 24, v4
	v_not_b32_e32 v47, v35
	v_writelane_b32 v254, s0, 49
	v_ashrrev_i32_e32 v4, 31, v7
	v_ashrrev_i32_e32 v114, 31, v47
	v_writelane_b32 v254, s1, 50
	v_cmp_gt_i64_e64 s[0:1], 0, v[34:35]
	v_lshlrev_b32_e32 v35, 30, v18
	v_not_b32_e32 v49, v35
	v_writelane_b32 v254, s0, 51
	v_ashrrev_i32_e32 v116, 31, v49
	v_lshl_add_u64 v[162:163], v[180:181], 0, -1
	v_writelane_b32 v254, s1, 52
	v_cmp_gt_i64_e64 s[0:1], 0, v[34:35]
	v_lshlrev_b32_e32 v35, 29, v18
	v_not_b32_e32 v51, v35
	v_writelane_b32 v254, s0, 53
	v_ashrrev_i32_e32 v118, 31, v51
	v_lshl_add_u64 v[164:165], v[184:185], 0, -1
	v_writelane_b32 v254, s1, 54
	v_cmp_gt_i64_e64 s[0:1], 0, v[34:35]
	v_lshlrev_b32_e32 v35, 28, v18
	v_not_b32_e32 v53, v35
	v_writelane_b32 v254, s0, 55
	v_ashrrev_i32_e32 v120, 31, v53
	v_cmp_eq_u32_e64 s[24:25], 1, v166
	v_writelane_b32 v254, s1, 56
	v_cmp_gt_i64_e64 s[0:1], 0, v[34:35]
	v_lshlrev_b32_e32 v35, 27, v18
	v_not_b32_e32 v55, v35
	v_writelane_b32 v254, s0, 57
	v_ashrrev_i32_e32 v122, 31, v55
	v_lshl_add_u64 v[166:167], v[186:187], 0, -1
	v_writelane_b32 v254, s1, 58
	v_cmp_gt_i64_e64 s[0:1], 0, v[34:35]
	v_lshlrev_b32_e32 v35, 26, v18
	v_not_b32_e32 v57, v35
	v_writelane_b32 v254, s0, 59
	v_ashrrev_i32_e32 v124, 31, v57
	v_cmp_eq_u32_e64 s[26:27], 1, v168
	v_writelane_b32 v254, s1, 60
	v_cmp_gt_i64_e64 s[0:1], 0, v[34:35]
	v_lshlrev_b32_e32 v35, 25, v18
	v_not_b32_e32 v59, v35
	v_writelane_b32 v254, s0, 61
	v_ashrrev_i32_e32 v126, 31, v59
	v_lshl_add_u64 v[168:169], v[190:191], 0, -1
	v_writelane_b32 v254, s1, 62
	v_cmp_gt_i64_e64 s[0:1], 0, v[34:35]
	v_lshlrev_b32_e32 v35, 24, v18
	v_not_b32_e32 v63, v35
	v_writelane_b32 v254, s0, 63
	v_ashrrev_i32_e32 v18, 31, v17
	v_ashrrev_i32_e32 v128, 31, v63
	v_writelane_b32 v255, s1, 0
	v_cmp_gt_i64_e64 s[0:1], 0, v[34:35]
	v_lshlrev_b32_e32 v35, 30, v20
	v_not_b32_e32 v65, v35
	v_writelane_b32 v255, s0, 1
	v_ashrrev_i32_e32 v130, 31, v65
	v_cmp_eq_u32_e64 s[28:29], 1, v170
	v_writelane_b32 v255, s1, 2
	v_cmp_gt_i64_e64 s[0:1], 0, v[34:35]
	v_lshlrev_b32_e32 v35, 29, v20
	v_not_b32_e32 v27, v35
	v_writelane_b32 v255, s0, 3
	v_ashrrev_i32_e32 v132, 31, v27
	v_lshl_add_u64 v[170:171], v[192:193], 0, -1
	v_writelane_b32 v255, s1, 4
	v_cmp_gt_i64_e64 s[0:1], 0, v[34:35]
	v_lshlrev_b32_e32 v35, 28, v20
	v_not_b32_e32 v29, v35
	v_writelane_b32 v255, s0, 5
	v_ashrrev_i32_e32 v134, 31, v29
	v_cmp_eq_u32_e64 s[30:31], 1, v172
	v_writelane_b32 v255, s1, 6
	v_cmp_gt_i64_e64 s[0:1], 0, v[34:35]
	v_lshlrev_b32_e32 v35, 27, v20
	v_not_b32_e32 v67, v35
	v_writelane_b32 v255, s0, 7
	v_ashrrev_i32_e32 v136, 31, v67
	v_cmp_eq_u32_e64 s[34:35], 1, v174
	v_writelane_b32 v255, s1, 8
	v_cmp_gt_i64_e64 s[0:1], 0, v[34:35]
	v_lshlrev_b32_e32 v35, 26, v20
	v_not_b32_e32 v69, v35
	v_writelane_b32 v255, s0, 9
	v_ashrrev_i32_e32 v138, 31, v69
	v_lshl_add_u64 v[174:175], v[40:41], 0, -1
	v_writelane_b32 v255, s1, 10
	v_cmp_gt_i64_e64 s[0:1], 0, v[34:35]
	v_lshlrev_b32_e32 v35, 25, v20
	v_not_b32_e32 v71, v35
	v_writelane_b32 v255, s0, 11
	v_ashrrev_i32_e32 v140, 31, v71
	v_cmp_eq_u32_e64 s[36:37], 1, v178
	v_writelane_b32 v255, s1, 12
	v_cmp_gt_i64_e64 s[0:1], 0, v[34:35]
	v_lshlrev_b32_e32 v35, 24, v20
	v_not_b32_e32 v73, v35
	v_writelane_b32 v255, s0, 13
	v_ashrrev_i32_e32 v20, 31, v21
	v_ashrrev_i32_e32 v142, 31, v73
	v_writelane_b32 v255, s1, 14
	v_cmp_gt_i64_e64 s[0:1], 0, v[34:35]
	v_lshlrev_b32_e32 v35, 30, v22
	v_not_b32_e32 v81, v35
	v_writelane_b32 v255, s0, 15
	v_ashrrev_i32_e32 v144, 31, v81
	v_cmp_eq_u32_e64 s[38:39], 1, v180
	v_writelane_b32 v255, s1, 16
	v_cmp_gt_i64_e64 s[0:1], 0, v[34:35]
	v_lshlrev_b32_e32 v35, 29, v22
	v_not_b32_e32 v85, v35
	v_writelane_b32 v255, s0, 17
	v_ashrrev_i32_e32 v146, 31, v85
	v_cmp_eq_u32_e64 s[40:41], 1, v184
	;; [unrolled: 7-line block ×6, first 2 shown]
	v_writelane_b32 v255, s1, 26
	v_cmp_gt_i64_e64 s[0:1], 0, v[34:35]
	v_lshlrev_b32_e32 v35, 24, v22
	v_not_b32_e32 v83, v35
	v_writelane_b32 v255, s0, 27
	v_ashrrev_i32_e32 v22, 31, v37
	v_mov_b32_e32 v37, v34
	v_writelane_b32 v255, s1, 28
	v_cmp_gt_i64_e64 s[0:1], 0, v[34:35]
	v_lshlrev_b32_e32 v35, 30, v24
	v_not_b32_e32 v87, v35
	v_writelane_b32 v255, s0, 29
	v_ashrrev_i32_e32 v182, 31, v83
	v_ashrrev_i32_e32 v184, 31, v87
	v_writelane_b32 v255, s1, 30
	v_cmp_gt_i64_e64 s[0:1], 0, v[34:35]
	v_lshlrev_b32_e32 v35, 29, v24
	v_not_b32_e32 v91, v35
	v_writelane_b32 v255, s0, 31
	v_lshl_add_u64 v[186:187], v[36:37], 0, -1
	v_ashrrev_i32_e32 v188, 31, v91
	v_writelane_b32 v255, s1, 32
	v_cmp_gt_i64_e64 s[0:1], 0, v[34:35]
	v_lshlrev_b32_e32 v35, 28, v24
	v_not_b32_e32 v93, v35
	v_writelane_b32 v255, s0, 33
	v_ashrrev_i32_e32 v190, 31, v93
	v_cmp_eq_u32_e64 s[50:51], 1, v38
	v_writelane_b32 v255, s1, 34
	v_cmp_gt_i64_e64 s[0:1], 0, v[34:35]
	v_lshlrev_b32_e32 v35, 27, v24
	v_not_b32_e32 v95, v35
	v_writelane_b32 v255, s0, 35
	v_ashrrev_i32_e32 v194, 31, v95
	v_lshl_add_u64 v[198:199], v[210:211], 0, -1
	v_writelane_b32 v255, s1, 36
	v_cmp_gt_i64_e64 s[0:1], 0, v[34:35]
	v_lshlrev_b32_e32 v35, 26, v24
	v_not_b32_e32 v31, v35
	v_cmp_gt_i64_e64 s[64:65], 0, v[34:35]
	v_lshlrev_b32_e32 v35, 25, v24
	v_not_b32_e32 v33, v35
	;; [unrolled: 3-line block ×17, first 2 shown]
	v_cmp_gt_i64_e64 s[96:97], 0, v[34:35]
	v_lshlrev_b32_e32 v35, 30, v30
	v_writelane_b32 v255, s0, 37
	v_not_b32_e32 v5, v35
	v_cmp_gt_i64_e64 s[98:99], 0, v[34:35]
	v_lshlrev_b32_e32 v35, 29, v30
	v_writelane_b32 v255, s1, 38
	v_not_b32_e32 v7, v35
	v_cmp_gt_i64_e64 s[0:1], 0, v[34:35]
	v_lshlrev_b32_e32 v35, 28, v30
	v_not_b32_e32 v125, v35
	v_cmp_gt_i64_e64 s[60:61], 0, v[34:35]
	v_lshlrev_b32_e32 v35, 27, v30
	;; [unrolled: 3-line block ×12, first 2 shown]
	v_ashrrev_i32_e32 v24, 31, v1
	v_ashrrev_i32_e32 v28, 31, v9
	;; [unrolled: 1-line block ×3, first 2 shown]
	v_mov_b32_e32 v39, v34
	v_mov_b32_e32 v9, v34
	v_not_b32_e32 v1, v35
	v_ashrrev_i32_e32 v26, 31, v3
	v_ashrrev_i32_e32 v30, 31, v25
	v_lshl_add_u64 v[180:181], v[38:39], 0, -1
	v_lshl_add_u64 v[192:193], v[8:9], 0, -1
	v_ashrrev_i32_e32 v196, 31, v31
	v_ashrrev_i32_e32 v200, 31, v33
	v_cmp_eq_u32_e64 s[52:53], 1, v36
	v_ashrrev_i32_e32 v202, 31, v97
	v_ashrrev_i32_e32 v204, 31, v99
	v_cmp_eq_u32_e64 s[54:55], 1, v8
	v_ashrrev_i32_e32 v206, 31, v101
	v_ashrrev_i32_e32 v208, 31, v61
	v_cmp_eq_u32_e64 s[56:57], 1, v210
	v_ashrrev_i32_e32 v210, 31, v103
	v_ashrrev_i32_e32 v212, 31, v105
	;; [unrolled: 1-line block ×25, first 2 shown]
	v_cmp_gt_i64_e64 s[58:59], 0, v[34:35]
	v_accvgpr_mov_b32 a2, a4
	v_accvgpr_mov_b32 a23, a4
	;; [unrolled: 1-line block ×6, first 2 shown]
	v_accvgpr_write_b32 a29, v42
	v_mov_b32_e32 v11, v44
	v_mov_b32_e32 v13, v46
	;; [unrolled: 1-line block ×36, first 2 shown]
	v_accvgpr_write_b32 a18, v10
	v_mov_b32_e32 v85, v10
	v_accvgpr_read_b32 v87, a20
	v_mov_b32_e32 v89, v12
	v_mov_b32_e32 v91, v14
	;; [unrolled: 1-line block ×67, first 2 shown]
	v_accvgpr_write_b32 a22, v8
	v_mov_b32_e32 v3, v8
	v_mov_b32_e32 v5, v38
	;; [unrolled: 1-line block ×3, first 2 shown]
	v_accvgpr_read_b32 v10, a20
	s_branch .LBB23_2
.LBB23_1:                               ;   in Loop: Header=BB23_2 Depth=1
	s_or_b64 exec, exec, s[2:3]
	s_add_i32 s33, s33, -1
	s_cmp_eq_u32 s33, 0
	s_waitcnt lgkmcnt(0)
	s_barrier
	s_cbranch_scc1 .LBB23_36
.LBB23_2:                               ; =>This Inner Loop Header: Depth=1
	s_and_saveexec_b64 s[2:3], s[62:63]
	s_cbranch_execz .LBB23_4
; %bb.3:                                ;   in Loop: Header=BB23_2 Depth=1
	v_mov_b32_e32 v35, v34
	ds_write_b64 v0, v[34:35]
.LBB23_4:                               ;   in Loop: Header=BB23_2 Depth=1
	s_or_b64 exec, exec, s[2:3]
	v_readlane_b32 s2, v253, 5
	v_cndmask_b32_e64 v8, 0, 1, s[24:25]
	v_readlane_b32 s3, v253, 6
	v_cmp_ne_u32_e32 vcc, 0, v8
	v_accvgpr_read_b32 v10, a2
	v_cndmask_b32_e64 v35, 0, 1, s[2:3]
	v_xor_b32_e32 v8, vcc_hi, v151
	v_xor_b32_e32 v9, vcc_lo, v150
	v_cmp_ne_u32_e32 vcc, 0, v35
	v_accvgpr_read_b32 v35, a23
	v_readlane_b32 s2, v253, 7
	v_and_b32_e32 v8, exec_hi, v8
	v_xor_b32_e32 v35, vcc_hi, v35
	v_readlane_b32 s3, v253, 8
	v_and_b32_e32 v8, v8, v35
	v_xor_b32_e32 v252, vcc_lo, v10
	v_cndmask_b32_e64 v35, 0, 1, s[2:3]
	v_cmp_ne_u32_e32 vcc, 0, v35
	v_accvgpr_read_b32 v35, a25
	v_readlane_b32 s2, v253, 9
	v_xor_b32_e32 v35, vcc_hi, v35
	v_readlane_b32 s3, v253, 10
	v_and_b32_e32 v9, exec_lo, v9
	v_accvgpr_read_b32 v10, a4
	v_and_b32_e32 v8, v8, v35
	v_cndmask_b32_e64 v35, 0, 1, s[2:3]
	v_and_b32_e32 v9, v9, v252
	v_xor_b32_e32 v252, vcc_lo, v10
	v_cmp_ne_u32_e32 vcc, 0, v35
	v_accvgpr_read_b32 v35, a27
	v_readlane_b32 s2, v253, 11
	v_xor_b32_e32 v35, vcc_hi, v35
	v_readlane_b32 s3, v253, 12
	v_accvgpr_read_b32 v10, a6
	v_and_b32_e32 v8, v8, v35
	v_cndmask_b32_e64 v35, 0, 1, s[2:3]
	v_and_b32_e32 v9, v9, v252
	v_xor_b32_e32 v252, vcc_lo, v10
	v_cmp_ne_u32_e32 vcc, 0, v35
	v_accvgpr_read_b32 v35, a29
	v_readlane_b32 s2, v253, 13
	v_xor_b32_e32 v35, vcc_hi, v35
	v_readlane_b32 s3, v253, 14
	v_and_b32_e32 v8, v8, v35
	v_and_b32_e32 v9, v9, v252
	v_cndmask_b32_e64 v35, 0, 1, s[2:3]
	v_xor_b32_e32 v252, vcc_lo, v42
	v_cmp_ne_u32_e32 vcc, 0, v35
	v_readlane_b32 s2, v253, 15
	v_readlane_b32 s3, v253, 16
	v_xor_b32_e32 v35, vcc_hi, v11
	v_and_b32_e32 v8, v8, v35
	v_cndmask_b32_e64 v35, 0, 1, s[2:3]
	v_and_b32_e32 v9, v9, v252
	v_xor_b32_e32 v252, vcc_lo, v44
	v_cmp_ne_u32_e32 vcc, 0, v35
	v_readlane_b32 s2, v253, 17
	v_readlane_b32 s3, v253, 18
	v_xor_b32_e32 v35, vcc_hi, v13
	v_and_b32_e32 v8, v8, v35
	v_cndmask_b32_e64 v35, 0, 1, s[2:3]
	v_and_b32_e32 v9, v9, v252
	v_xor_b32_e32 v252, vcc_lo, v46
	v_cmp_ne_u32_e32 vcc, 0, v35
	v_and_b32_e32 v9, v9, v252
	s_waitcnt lgkmcnt(0)
	v_xor_b32_e32 v35, vcc_hi, v15
	v_xor_b32_e32 v252, vcc_lo, v48
	v_and_b32_e32 v35, v8, v35
	v_and_b32_e32 v8, v9, v252
	v_mbcnt_lo_u32_b32 v9, v8, 0
	v_mbcnt_hi_u32_b32 v9, v35, v9
	v_cmp_eq_u32_e32 vcc, 0, v9
	s_barrier
	s_and_saveexec_b64 s[2:3], vcc
	s_cbranch_execz .LBB23_6
; %bb.5:                                ;   in Loop: Header=BB23_2 Depth=1
	v_bcnt_u32_b32 v8, v8, 0
	v_bcnt_u32_b32 v8, v35, v8
	v_mov_b32_e32 v9, v34
	v_accvgpr_read_b32 v10, a1
	ds_add_u64 v10, v[8:9]
.LBB23_6:                               ;   in Loop: Header=BB23_2 Depth=1
	s_or_b64 exec, exec, s[2:3]
	v_readlane_b32 s2, v253, 19
	v_cndmask_b32_e64 v8, 0, 1, s[26:27]
	v_readlane_b32 s3, v253, 20
	v_cmp_ne_u32_e32 vcc, 0, v8
	s_nop 0
	v_cndmask_b32_e64 v35, 0, 1, s[2:3]
	v_xor_b32_e32 v8, vcc_hi, v153
	v_xor_b32_e32 v9, vcc_lo, v152
	v_cmp_ne_u32_e32 vcc, 0, v35
	v_readlane_b32 s2, v253, 21
	v_and_b32_e32 v8, exec_hi, v8
	v_xor_b32_e32 v35, vcc_hi, v17
	v_readlane_b32 s3, v253, 22
	v_and_b32_e32 v8, v8, v35
	v_xor_b32_e32 v252, vcc_lo, v50
	v_cndmask_b32_e64 v35, 0, 1, s[2:3]
	v_cmp_ne_u32_e32 vcc, 0, v35
	v_readlane_b32 s2, v253, 23
	v_readlane_b32 s3, v253, 24
	v_xor_b32_e32 v35, vcc_hi, v19
	v_and_b32_e32 v9, exec_lo, v9
	v_and_b32_e32 v8, v8, v35
	v_cndmask_b32_e64 v35, 0, 1, s[2:3]
	v_and_b32_e32 v9, v9, v252
	v_xor_b32_e32 v252, vcc_lo, v52
	v_cmp_ne_u32_e32 vcc, 0, v35
	v_readlane_b32 s2, v253, 25
	v_readlane_b32 s3, v253, 26
	v_xor_b32_e32 v35, vcc_hi, v21
	v_and_b32_e32 v8, v8, v35
	v_cndmask_b32_e64 v35, 0, 1, s[2:3]
	v_and_b32_e32 v9, v9, v252
	v_xor_b32_e32 v252, vcc_lo, v54
	v_cmp_ne_u32_e32 vcc, 0, v35
	v_readlane_b32 s2, v253, 27
	v_readlane_b32 s3, v253, 28
	v_xor_b32_e32 v35, vcc_hi, v23
	;; [unrolled: 8-line block ×4, first 2 shown]
	v_and_b32_e32 v8, v8, v35
	v_cndmask_b32_e64 v35, 0, 1, s[2:3]
	v_and_b32_e32 v9, v9, v252
	v_xor_b32_e32 v252, vcc_lo, v60
	v_cmp_ne_u32_e32 vcc, 0, v35
	v_and_b32_e32 v9, v9, v252
	s_nop 0
	v_xor_b32_e32 v35, vcc_hi, v29
	v_xor_b32_e32 v252, vcc_lo, v62
	v_and_b32_e32 v35, v8, v35
	v_and_b32_e32 v8, v9, v252
	v_mbcnt_lo_u32_b32 v9, v8, 0
	v_mbcnt_hi_u32_b32 v9, v35, v9
	v_cmp_eq_u32_e32 vcc, 0, v9
	s_and_saveexec_b64 s[2:3], vcc
	s_cbranch_execz .LBB23_8
; %bb.7:                                ;   in Loop: Header=BB23_2 Depth=1
	v_bcnt_u32_b32 v8, v8, 0
	v_bcnt_u32_b32 v8, v35, v8
	v_mov_b32_e32 v9, v34
	v_accvgpr_read_b32 v10, a3
	ds_add_u64 v10, v[8:9]
.LBB23_8:                               ;   in Loop: Header=BB23_2 Depth=1
	s_or_b64 exec, exec, s[2:3]
	v_readlane_b32 s2, v253, 33
	v_cndmask_b32_e64 v8, 0, 1, s[28:29]
	v_readlane_b32 s3, v253, 34
	v_cmp_ne_u32_e32 vcc, 0, v8
	s_nop 0
	v_cndmask_b32_e64 v35, 0, 1, s[2:3]
	v_xor_b32_e32 v8, vcc_hi, v155
	v_xor_b32_e32 v9, vcc_lo, v154
	v_cmp_ne_u32_e32 vcc, 0, v35
	v_readlane_b32 s2, v253, 35
	v_and_b32_e32 v8, exec_hi, v8
	v_xor_b32_e32 v35, vcc_hi, v31
	v_readlane_b32 s3, v253, 36
	v_and_b32_e32 v8, v8, v35
	v_xor_b32_e32 v252, vcc_lo, v64
	v_cndmask_b32_e64 v35, 0, 1, s[2:3]
	v_cmp_ne_u32_e32 vcc, 0, v35
	v_readlane_b32 s2, v253, 37
	v_readlane_b32 s3, v253, 38
	v_xor_b32_e32 v35, vcc_hi, v33
	v_and_b32_e32 v9, exec_lo, v9
	v_and_b32_e32 v8, v8, v35
	v_cndmask_b32_e64 v35, 0, 1, s[2:3]
	v_and_b32_e32 v9, v9, v252
	v_xor_b32_e32 v252, vcc_lo, v66
	v_cmp_ne_u32_e32 vcc, 0, v35
	v_readlane_b32 s2, v253, 39
	v_readlane_b32 s3, v253, 40
	v_xor_b32_e32 v35, vcc_hi, v37
	v_and_b32_e32 v8, v8, v35
	v_cndmask_b32_e64 v35, 0, 1, s[2:3]
	v_and_b32_e32 v9, v9, v252
	v_xor_b32_e32 v252, vcc_lo, v68
	v_cmp_ne_u32_e32 vcc, 0, v35
	v_readlane_b32 s2, v253, 41
	v_readlane_b32 s3, v253, 42
	v_xor_b32_e32 v35, vcc_hi, v39
	;; [unrolled: 8-line block ×4, first 2 shown]
	v_and_b32_e32 v8, v8, v35
	v_cndmask_b32_e64 v35, 0, 1, s[2:3]
	v_and_b32_e32 v9, v9, v252
	v_xor_b32_e32 v252, vcc_lo, v74
	v_cmp_ne_u32_e32 vcc, 0, v35
	v_and_b32_e32 v9, v9, v252
	s_nop 0
	v_xor_b32_e32 v35, vcc_hi, v45
	v_xor_b32_e32 v252, vcc_lo, v76
	v_and_b32_e32 v35, v8, v35
	v_and_b32_e32 v8, v9, v252
	v_mbcnt_lo_u32_b32 v9, v8, 0
	v_mbcnt_hi_u32_b32 v9, v35, v9
	v_cmp_eq_u32_e32 vcc, 0, v9
	s_and_saveexec_b64 s[2:3], vcc
	s_cbranch_execz .LBB23_10
; %bb.9:                                ;   in Loop: Header=BB23_2 Depth=1
	v_bcnt_u32_b32 v8, v8, 0
	v_bcnt_u32_b32 v8, v35, v8
	v_mov_b32_e32 v9, v34
	v_accvgpr_read_b32 v10, a5
	ds_add_u64 v10, v[8:9]
.LBB23_10:                              ;   in Loop: Header=BB23_2 Depth=1
	s_or_b64 exec, exec, s[2:3]
	v_readlane_b32 s2, v253, 47
	v_cndmask_b32_e64 v8, 0, 1, s[30:31]
	v_readlane_b32 s3, v253, 48
	v_cmp_ne_u32_e32 vcc, 0, v8
	s_nop 0
	v_cndmask_b32_e64 v35, 0, 1, s[2:3]
	v_xor_b32_e32 v8, vcc_hi, v157
	v_xor_b32_e32 v9, vcc_lo, v156
	v_cmp_ne_u32_e32 vcc, 0, v35
	v_readlane_b32 s2, v253, 49
	v_and_b32_e32 v8, exec_hi, v8
	v_xor_b32_e32 v35, vcc_hi, v47
	v_readlane_b32 s3, v253, 50
	v_and_b32_e32 v8, v8, v35
	v_xor_b32_e32 v252, vcc_lo, v78
	v_cndmask_b32_e64 v35, 0, 1, s[2:3]
	v_cmp_ne_u32_e32 vcc, 0, v35
	v_readlane_b32 s2, v253, 51
	v_readlane_b32 s3, v253, 52
	v_xor_b32_e32 v35, vcc_hi, v49
	v_and_b32_e32 v9, exec_lo, v9
	v_and_b32_e32 v8, v8, v35
	v_cndmask_b32_e64 v35, 0, 1, s[2:3]
	v_and_b32_e32 v9, v9, v252
	v_xor_b32_e32 v252, vcc_lo, v80
	v_cmp_ne_u32_e32 vcc, 0, v35
	v_readlane_b32 s2, v253, 53
	v_readlane_b32 s3, v253, 54
	v_xor_b32_e32 v35, vcc_hi, v51
	v_and_b32_e32 v8, v8, v35
	v_cndmask_b32_e64 v35, 0, 1, s[2:3]
	v_and_b32_e32 v9, v9, v252
	v_xor_b32_e32 v252, vcc_lo, v82
	v_cmp_ne_u32_e32 vcc, 0, v35
	v_readlane_b32 s2, v253, 55
	v_readlane_b32 s3, v253, 56
	v_xor_b32_e32 v35, vcc_hi, v53
	;; [unrolled: 8-line block ×4, first 2 shown]
	v_and_b32_e32 v8, v8, v35
	v_cndmask_b32_e64 v35, 0, 1, s[2:3]
	v_and_b32_e32 v9, v9, v252
	v_xor_b32_e32 v252, vcc_lo, v88
	v_cmp_ne_u32_e32 vcc, 0, v35
	v_and_b32_e32 v9, v9, v252
	s_nop 0
	v_xor_b32_e32 v35, vcc_hi, v59
	v_xor_b32_e32 v252, vcc_lo, v90
	v_and_b32_e32 v35, v8, v35
	v_and_b32_e32 v8, v9, v252
	v_mbcnt_lo_u32_b32 v9, v8, 0
	v_mbcnt_hi_u32_b32 v9, v35, v9
	v_cmp_eq_u32_e32 vcc, 0, v9
	s_and_saveexec_b64 s[2:3], vcc
	s_cbranch_execz .LBB23_12
; %bb.11:                               ;   in Loop: Header=BB23_2 Depth=1
	v_bcnt_u32_b32 v8, v8, 0
	v_bcnt_u32_b32 v8, v35, v8
	v_mov_b32_e32 v9, v34
	v_accvgpr_read_b32 v10, a7
	ds_add_u64 v10, v[8:9]
.LBB23_12:                              ;   in Loop: Header=BB23_2 Depth=1
	s_or_b64 exec, exec, s[2:3]
	v_readlane_b32 s2, v253, 61
	v_cndmask_b32_e64 v8, 0, 1, s[34:35]
	v_readlane_b32 s3, v253, 62
	v_cmp_ne_u32_e32 vcc, 0, v8
	s_nop 0
	v_cndmask_b32_e64 v35, 0, 1, s[2:3]
	v_xor_b32_e32 v8, vcc_hi, v159
	v_xor_b32_e32 v9, vcc_lo, v158
	v_cmp_ne_u32_e32 vcc, 0, v35
	v_readlane_b32 s2, v253, 63
	v_and_b32_e32 v8, exec_hi, v8
	v_xor_b32_e32 v35, vcc_hi, v61
	v_readlane_b32 s3, v254, 0
	v_and_b32_e32 v8, v8, v35
	v_xor_b32_e32 v252, vcc_lo, v92
	v_cndmask_b32_e64 v35, 0, 1, s[2:3]
	v_cmp_ne_u32_e32 vcc, 0, v35
	v_readlane_b32 s2, v254, 1
	v_readlane_b32 s3, v254, 2
	v_xor_b32_e32 v35, vcc_hi, v63
	v_and_b32_e32 v9, exec_lo, v9
	v_and_b32_e32 v8, v8, v35
	v_cndmask_b32_e64 v35, 0, 1, s[2:3]
	v_and_b32_e32 v9, v9, v252
	v_xor_b32_e32 v252, vcc_lo, v94
	v_cmp_ne_u32_e32 vcc, 0, v35
	v_readlane_b32 s2, v254, 3
	v_readlane_b32 s3, v254, 4
	v_xor_b32_e32 v35, vcc_hi, v65
	v_and_b32_e32 v8, v8, v35
	v_cndmask_b32_e64 v35, 0, 1, s[2:3]
	v_and_b32_e32 v9, v9, v252
	v_xor_b32_e32 v252, vcc_lo, v96
	v_cmp_ne_u32_e32 vcc, 0, v35
	v_readlane_b32 s2, v254, 5
	v_readlane_b32 s3, v254, 6
	v_xor_b32_e32 v35, vcc_hi, v67
	;; [unrolled: 8-line block ×4, first 2 shown]
	v_and_b32_e32 v8, v8, v35
	v_cndmask_b32_e64 v35, 0, 1, s[2:3]
	v_and_b32_e32 v9, v9, v252
	v_xor_b32_e32 v252, vcc_lo, v102
	v_cmp_ne_u32_e32 vcc, 0, v35
	v_and_b32_e32 v9, v9, v252
	s_nop 0
	v_xor_b32_e32 v35, vcc_hi, v73
	v_xor_b32_e32 v252, vcc_lo, v104
	v_and_b32_e32 v35, v8, v35
	v_and_b32_e32 v8, v9, v252
	v_mbcnt_lo_u32_b32 v9, v8, 0
	v_mbcnt_hi_u32_b32 v9, v35, v9
	v_cmp_eq_u32_e32 vcc, 0, v9
	s_and_saveexec_b64 s[2:3], vcc
	s_cbranch_execz .LBB23_14
; %bb.13:                               ;   in Loop: Header=BB23_2 Depth=1
	v_bcnt_u32_b32 v8, v8, 0
	v_bcnt_u32_b32 v8, v35, v8
	v_mov_b32_e32 v9, v34
	v_accvgpr_read_b32 v10, a8
	ds_add_u64 v10, v[8:9]
.LBB23_14:                              ;   in Loop: Header=BB23_2 Depth=1
	s_or_b64 exec, exec, s[2:3]
	v_readlane_b32 s2, v254, 11
	v_cndmask_b32_e64 v8, 0, 1, s[36:37]
	v_readlane_b32 s3, v254, 12
	v_cmp_ne_u32_e32 vcc, 0, v8
	v_accvgpr_read_b32 v10, a18
	v_cndmask_b32_e64 v35, 0, 1, s[2:3]
	v_xor_b32_e32 v8, vcc_hi, v161
	v_xor_b32_e32 v9, vcc_lo, v160
	v_cmp_ne_u32_e32 vcc, 0, v35
	v_readlane_b32 s2, v254, 13
	v_and_b32_e32 v8, exec_hi, v8
	v_xor_b32_e32 v35, vcc_hi, v75
	v_readlane_b32 s3, v254, 14
	v_and_b32_e32 v8, v8, v35
	v_xor_b32_e32 v252, vcc_lo, v106
	v_cndmask_b32_e64 v35, 0, 1, s[2:3]
	v_cmp_ne_u32_e32 vcc, 0, v35
	v_readlane_b32 s2, v254, 15
	v_readlane_b32 s3, v254, 16
	v_xor_b32_e32 v35, vcc_hi, v77
	v_and_b32_e32 v9, exec_lo, v9
	v_and_b32_e32 v8, v8, v35
	v_cndmask_b32_e64 v35, 0, 1, s[2:3]
	v_and_b32_e32 v9, v9, v252
	v_xor_b32_e32 v252, vcc_lo, v108
	v_cmp_ne_u32_e32 vcc, 0, v35
	v_readlane_b32 s2, v254, 17
	v_readlane_b32 s3, v254, 18
	v_xor_b32_e32 v35, vcc_hi, v79
	v_and_b32_e32 v8, v8, v35
	v_cndmask_b32_e64 v35, 0, 1, s[2:3]
	v_and_b32_e32 v9, v9, v252
	v_xor_b32_e32 v252, vcc_lo, v2
	v_cmp_ne_u32_e32 vcc, 0, v35
	v_readlane_b32 s2, v254, 19
	v_readlane_b32 s3, v254, 20
	v_xor_b32_e32 v35, vcc_hi, v81
	;; [unrolled: 8-line block ×4, first 2 shown]
	v_and_b32_e32 v8, v8, v35
	v_cndmask_b32_e64 v35, 0, 1, s[2:3]
	v_and_b32_e32 v9, v9, v252
	v_xor_b32_e32 v252, vcc_lo, v10
	v_cmp_ne_u32_e32 vcc, 0, v35
	v_accvgpr_read_b32 v10, a20
	v_and_b32_e32 v9, v9, v252
	v_xor_b32_e32 v35, vcc_hi, v87
	v_xor_b32_e32 v252, vcc_lo, v10
	v_and_b32_e32 v35, v8, v35
	v_and_b32_e32 v8, v9, v252
	v_mbcnt_lo_u32_b32 v9, v8, 0
	v_mbcnt_hi_u32_b32 v9, v35, v9
	v_cmp_eq_u32_e32 vcc, 0, v9
	s_and_saveexec_b64 s[2:3], vcc
	s_cbranch_execz .LBB23_16
; %bb.15:                               ;   in Loop: Header=BB23_2 Depth=1
	v_bcnt_u32_b32 v8, v8, 0
	v_bcnt_u32_b32 v8, v35, v8
	v_mov_b32_e32 v9, v34
	v_accvgpr_read_b32 v10, a9
	ds_add_u64 v10, v[8:9]
.LBB23_16:                              ;   in Loop: Header=BB23_2 Depth=1
	s_or_b64 exec, exec, s[2:3]
	v_readlane_b32 s2, v254, 25
	v_cndmask_b32_e64 v8, 0, 1, s[38:39]
	v_readlane_b32 s3, v254, 26
	v_cmp_ne_u32_e32 vcc, 0, v8
	s_nop 0
	v_cndmask_b32_e64 v35, 0, 1, s[2:3]
	v_xor_b32_e32 v8, vcc_hi, v163
	v_xor_b32_e32 v9, vcc_lo, v162
	v_cmp_ne_u32_e32 vcc, 0, v35
	v_readlane_b32 s2, v254, 27
	v_and_b32_e32 v8, exec_hi, v8
	v_xor_b32_e32 v35, vcc_hi, v89
	v_readlane_b32 s3, v254, 28
	v_and_b32_e32 v8, v8, v35
	v_xor_b32_e32 v252, vcc_lo, v12
	v_cndmask_b32_e64 v35, 0, 1, s[2:3]
	v_cmp_ne_u32_e32 vcc, 0, v35
	v_readlane_b32 s2, v254, 29
	v_readlane_b32 s3, v254, 30
	v_xor_b32_e32 v35, vcc_hi, v91
	v_and_b32_e32 v9, exec_lo, v9
	v_and_b32_e32 v8, v8, v35
	v_cndmask_b32_e64 v35, 0, 1, s[2:3]
	v_and_b32_e32 v9, v9, v252
	v_xor_b32_e32 v252, vcc_lo, v14
	v_cmp_ne_u32_e32 vcc, 0, v35
	v_readlane_b32 s2, v254, 31
	v_readlane_b32 s3, v254, 32
	v_xor_b32_e32 v35, vcc_hi, v93
	v_and_b32_e32 v8, v8, v35
	v_cndmask_b32_e64 v35, 0, 1, s[2:3]
	v_and_b32_e32 v9, v9, v252
	v_xor_b32_e32 v252, vcc_lo, v16
	v_cmp_ne_u32_e32 vcc, 0, v35
	v_readlane_b32 s2, v254, 33
	v_readlane_b32 s3, v254, 34
	v_xor_b32_e32 v35, vcc_hi, v95
	;; [unrolled: 8-line block ×4, first 2 shown]
	v_and_b32_e32 v8, v8, v35
	v_cndmask_b32_e64 v35, 0, 1, s[2:3]
	v_and_b32_e32 v9, v9, v252
	v_xor_b32_e32 v252, vcc_lo, v22
	v_cmp_ne_u32_e32 vcc, 0, v35
	v_and_b32_e32 v9, v9, v252
	s_nop 0
	v_xor_b32_e32 v35, vcc_hi, v101
	v_xor_b32_e32 v252, vcc_lo, v24
	v_and_b32_e32 v35, v8, v35
	v_and_b32_e32 v8, v9, v252
	v_mbcnt_lo_u32_b32 v9, v8, 0
	v_mbcnt_hi_u32_b32 v9, v35, v9
	v_cmp_eq_u32_e32 vcc, 0, v9
	s_and_saveexec_b64 s[2:3], vcc
	s_cbranch_execz .LBB23_18
; %bb.17:                               ;   in Loop: Header=BB23_2 Depth=1
	v_bcnt_u32_b32 v8, v8, 0
	v_bcnt_u32_b32 v8, v35, v8
	v_mov_b32_e32 v9, v34
	v_accvgpr_read_b32 v10, a10
	ds_add_u64 v10, v[8:9]
.LBB23_18:                              ;   in Loop: Header=BB23_2 Depth=1
	s_or_b64 exec, exec, s[2:3]
	v_readlane_b32 s2, v254, 39
	v_cndmask_b32_e64 v8, 0, 1, s[40:41]
	v_readlane_b32 s3, v254, 40
	v_cmp_ne_u32_e32 vcc, 0, v8
	s_nop 0
	v_cndmask_b32_e64 v35, 0, 1, s[2:3]
	v_xor_b32_e32 v8, vcc_hi, v165
	v_xor_b32_e32 v9, vcc_lo, v164
	v_cmp_ne_u32_e32 vcc, 0, v35
	v_readlane_b32 s2, v254, 41
	v_and_b32_e32 v8, exec_hi, v8
	v_xor_b32_e32 v35, vcc_hi, v103
	v_readlane_b32 s3, v254, 42
	v_and_b32_e32 v8, v8, v35
	v_xor_b32_e32 v252, vcc_lo, v26
	v_cndmask_b32_e64 v35, 0, 1, s[2:3]
	v_cmp_ne_u32_e32 vcc, 0, v35
	v_readlane_b32 s2, v254, 43
	v_readlane_b32 s3, v254, 44
	v_xor_b32_e32 v35, vcc_hi, v105
	v_and_b32_e32 v9, exec_lo, v9
	v_and_b32_e32 v8, v8, v35
	v_cndmask_b32_e64 v35, 0, 1, s[2:3]
	v_and_b32_e32 v9, v9, v252
	v_xor_b32_e32 v252, vcc_lo, v28
	v_cmp_ne_u32_e32 vcc, 0, v35
	v_readlane_b32 s2, v254, 45
	v_readlane_b32 s3, v254, 46
	v_xor_b32_e32 v35, vcc_hi, v107
	v_and_b32_e32 v8, v8, v35
	v_cndmask_b32_e64 v35, 0, 1, s[2:3]
	v_and_b32_e32 v9, v9, v252
	v_xor_b32_e32 v252, vcc_lo, v30
	v_cmp_ne_u32_e32 vcc, 0, v35
	v_readlane_b32 s2, v254, 47
	v_readlane_b32 s3, v254, 48
	v_xor_b32_e32 v35, vcc_hi, v109
	v_and_b32_e32 v8, v8, v35
	v_cndmask_b32_e64 v35, 0, 1, s[2:3]
	v_and_b32_e32 v9, v9, v252
	v_xor_b32_e32 v252, vcc_lo, v32
	v_cmp_ne_u32_e32 vcc, 0, v35
	v_readlane_b32 s2, v254, 49
	v_readlane_b32 s3, v254, 50
	v_xor_b32_e32 v35, vcc_hi, v111
	v_and_b32_e32 v8, v8, v35
	v_cndmask_b32_e64 v35, 0, 1, s[2:3]
	v_and_b32_e32 v9, v9, v252
	v_xor_b32_e32 v252, vcc_lo, v110
	v_cmp_ne_u32_e32 vcc, 0, v35
	v_readlane_b32 s2, v254, 51
	v_readlane_b32 s3, v254, 52
	v_xor_b32_e32 v35, vcc_hi, v113
	v_and_b32_e32 v8, v8, v35
	v_cndmask_b32_e64 v35, 0, 1, s[2:3]
	v_and_b32_e32 v9, v9, v252
	v_xor_b32_e32 v252, vcc_lo, v112
	v_cmp_ne_u32_e32 vcc, 0, v35
	v_and_b32_e32 v9, v9, v252
	s_nop 0
	v_xor_b32_e32 v35, vcc_hi, v115
	v_xor_b32_e32 v252, vcc_lo, v114
	v_and_b32_e32 v35, v8, v35
	v_and_b32_e32 v8, v9, v252
	v_mbcnt_lo_u32_b32 v9, v8, 0
	v_mbcnt_hi_u32_b32 v9, v35, v9
	v_cmp_eq_u32_e32 vcc, 0, v9
	s_and_saveexec_b64 s[2:3], vcc
	s_cbranch_execz .LBB23_20
; %bb.19:                               ;   in Loop: Header=BB23_2 Depth=1
	v_bcnt_u32_b32 v8, v8, 0
	v_bcnt_u32_b32 v8, v35, v8
	v_mov_b32_e32 v9, v34
	v_accvgpr_read_b32 v10, a11
	ds_add_u64 v10, v[8:9]
.LBB23_20:                              ;   in Loop: Header=BB23_2 Depth=1
	s_or_b64 exec, exec, s[2:3]
	v_readlane_b32 s2, v254, 53
	v_cndmask_b32_e64 v8, 0, 1, s[42:43]
	v_readlane_b32 s3, v254, 54
	v_cmp_ne_u32_e32 vcc, 0, v8
	s_nop 0
	v_cndmask_b32_e64 v35, 0, 1, s[2:3]
	v_xor_b32_e32 v8, vcc_hi, v167
	v_xor_b32_e32 v9, vcc_lo, v166
	v_cmp_ne_u32_e32 vcc, 0, v35
	v_readlane_b32 s2, v254, 55
	v_and_b32_e32 v8, exec_hi, v8
	v_xor_b32_e32 v35, vcc_hi, v117
	v_readlane_b32 s3, v254, 56
	v_and_b32_e32 v8, v8, v35
	v_xor_b32_e32 v252, vcc_lo, v116
	v_cndmask_b32_e64 v35, 0, 1, s[2:3]
	v_cmp_ne_u32_e32 vcc, 0, v35
	v_readlane_b32 s2, v254, 57
	v_readlane_b32 s3, v254, 58
	v_xor_b32_e32 v35, vcc_hi, v119
	v_and_b32_e32 v9, exec_lo, v9
	v_and_b32_e32 v8, v8, v35
	v_cndmask_b32_e64 v35, 0, 1, s[2:3]
	v_and_b32_e32 v9, v9, v252
	v_xor_b32_e32 v252, vcc_lo, v118
	v_cmp_ne_u32_e32 vcc, 0, v35
	v_readlane_b32 s2, v254, 59
	v_readlane_b32 s3, v254, 60
	v_xor_b32_e32 v35, vcc_hi, v121
	v_and_b32_e32 v8, v8, v35
	v_cndmask_b32_e64 v35, 0, 1, s[2:3]
	v_and_b32_e32 v9, v9, v252
	v_xor_b32_e32 v252, vcc_lo, v120
	v_cmp_ne_u32_e32 vcc, 0, v35
	v_readlane_b32 s2, v254, 61
	v_readlane_b32 s3, v254, 62
	v_xor_b32_e32 v35, vcc_hi, v123
	;; [unrolled: 8-line block ×4, first 2 shown]
	v_and_b32_e32 v8, v8, v35
	v_cndmask_b32_e64 v35, 0, 1, s[2:3]
	v_and_b32_e32 v9, v9, v252
	v_xor_b32_e32 v252, vcc_lo, v126
	v_cmp_ne_u32_e32 vcc, 0, v35
	v_and_b32_e32 v9, v9, v252
	s_nop 0
	v_xor_b32_e32 v35, vcc_hi, v129
	v_xor_b32_e32 v252, vcc_lo, v128
	v_and_b32_e32 v35, v8, v35
	v_and_b32_e32 v8, v9, v252
	v_mbcnt_lo_u32_b32 v9, v8, 0
	v_mbcnt_hi_u32_b32 v9, v35, v9
	v_cmp_eq_u32_e32 vcc, 0, v9
	s_and_saveexec_b64 s[2:3], vcc
	s_cbranch_execz .LBB23_22
; %bb.21:                               ;   in Loop: Header=BB23_2 Depth=1
	v_bcnt_u32_b32 v8, v8, 0
	v_bcnt_u32_b32 v8, v35, v8
	v_mov_b32_e32 v9, v34
	v_accvgpr_read_b32 v10, a12
	ds_add_u64 v10, v[8:9]
.LBB23_22:                              ;   in Loop: Header=BB23_2 Depth=1
	s_or_b64 exec, exec, s[2:3]
	v_readlane_b32 s2, v255, 3
	v_cndmask_b32_e64 v8, 0, 1, s[44:45]
	v_readlane_b32 s3, v255, 4
	v_cmp_ne_u32_e32 vcc, 0, v8
	s_nop 0
	v_cndmask_b32_e64 v35, 0, 1, s[2:3]
	v_xor_b32_e32 v8, vcc_hi, v169
	v_xor_b32_e32 v9, vcc_lo, v168
	v_cmp_ne_u32_e32 vcc, 0, v35
	v_readlane_b32 s2, v255, 5
	v_and_b32_e32 v8, exec_hi, v8
	v_xor_b32_e32 v35, vcc_hi, v131
	v_readlane_b32 s3, v255, 6
	v_and_b32_e32 v8, v8, v35
	v_xor_b32_e32 v252, vcc_lo, v130
	v_cndmask_b32_e64 v35, 0, 1, s[2:3]
	v_cmp_ne_u32_e32 vcc, 0, v35
	v_readlane_b32 s2, v255, 7
	v_readlane_b32 s3, v255, 8
	v_xor_b32_e32 v35, vcc_hi, v133
	v_and_b32_e32 v9, exec_lo, v9
	v_and_b32_e32 v8, v8, v35
	v_cndmask_b32_e64 v35, 0, 1, s[2:3]
	v_and_b32_e32 v9, v9, v252
	v_xor_b32_e32 v252, vcc_lo, v132
	v_cmp_ne_u32_e32 vcc, 0, v35
	v_readlane_b32 s2, v255, 9
	v_readlane_b32 s3, v255, 10
	v_xor_b32_e32 v35, vcc_hi, v135
	v_and_b32_e32 v8, v8, v35
	v_cndmask_b32_e64 v35, 0, 1, s[2:3]
	v_and_b32_e32 v9, v9, v252
	v_xor_b32_e32 v252, vcc_lo, v134
	v_cmp_ne_u32_e32 vcc, 0, v35
	v_readlane_b32 s2, v255, 11
	v_readlane_b32 s3, v255, 12
	v_xor_b32_e32 v35, vcc_hi, v137
	;; [unrolled: 8-line block ×4, first 2 shown]
	v_and_b32_e32 v8, v8, v35
	v_cndmask_b32_e64 v35, 0, 1, s[2:3]
	v_and_b32_e32 v9, v9, v252
	v_xor_b32_e32 v252, vcc_lo, v140
	v_cmp_ne_u32_e32 vcc, 0, v35
	v_and_b32_e32 v9, v9, v252
	s_nop 0
	v_xor_b32_e32 v35, vcc_hi, v143
	v_xor_b32_e32 v252, vcc_lo, v142
	v_and_b32_e32 v35, v8, v35
	v_and_b32_e32 v8, v9, v252
	v_mbcnt_lo_u32_b32 v9, v8, 0
	v_mbcnt_hi_u32_b32 v9, v35, v9
	v_cmp_eq_u32_e32 vcc, 0, v9
	s_and_saveexec_b64 s[2:3], vcc
	s_cbranch_execz .LBB23_24
; %bb.23:                               ;   in Loop: Header=BB23_2 Depth=1
	v_bcnt_u32_b32 v8, v8, 0
	v_bcnt_u32_b32 v8, v35, v8
	v_mov_b32_e32 v9, v34
	v_accvgpr_read_b32 v10, a13
	ds_add_u64 v10, v[8:9]
.LBB23_24:                              ;   in Loop: Header=BB23_2 Depth=1
	s_or_b64 exec, exec, s[2:3]
	v_readlane_b32 s2, v255, 17
	v_cndmask_b32_e64 v8, 0, 1, s[46:47]
	v_readlane_b32 s3, v255, 18
	v_cmp_ne_u32_e32 vcc, 0, v8
	s_nop 0
	v_cndmask_b32_e64 v35, 0, 1, s[2:3]
	v_xor_b32_e32 v8, vcc_hi, v171
	v_xor_b32_e32 v9, vcc_lo, v170
	v_cmp_ne_u32_e32 vcc, 0, v35
	v_readlane_b32 s2, v255, 19
	v_and_b32_e32 v8, exec_hi, v8
	v_xor_b32_e32 v35, vcc_hi, v145
	v_readlane_b32 s3, v255, 20
	v_and_b32_e32 v8, v8, v35
	v_xor_b32_e32 v252, vcc_lo, v144
	v_cndmask_b32_e64 v35, 0, 1, s[2:3]
	v_cmp_ne_u32_e32 vcc, 0, v35
	v_readlane_b32 s2, v255, 21
	v_readlane_b32 s3, v255, 22
	v_xor_b32_e32 v35, vcc_hi, v147
	v_and_b32_e32 v9, exec_lo, v9
	v_and_b32_e32 v8, v8, v35
	v_cndmask_b32_e64 v35, 0, 1, s[2:3]
	v_and_b32_e32 v9, v9, v252
	v_xor_b32_e32 v252, vcc_lo, v146
	v_cmp_ne_u32_e32 vcc, 0, v35
	v_readlane_b32 s2, v255, 23
	v_readlane_b32 s3, v255, 24
	v_xor_b32_e32 v35, vcc_hi, v149
	v_and_b32_e32 v8, v8, v35
	v_cndmask_b32_e64 v35, 0, 1, s[2:3]
	v_and_b32_e32 v9, v9, v252
	v_xor_b32_e32 v252, vcc_lo, v148
	v_cmp_ne_u32_e32 vcc, 0, v35
	v_readlane_b32 s2, v255, 25
	v_readlane_b32 s3, v255, 26
	v_xor_b32_e32 v35, vcc_hi, v173
	;; [unrolled: 8-line block ×4, first 2 shown]
	v_and_b32_e32 v8, v8, v35
	v_cndmask_b32_e64 v35, 0, 1, s[2:3]
	v_and_b32_e32 v9, v9, v252
	v_xor_b32_e32 v252, vcc_lo, v178
	v_cmp_ne_u32_e32 vcc, 0, v35
	v_and_b32_e32 v9, v9, v252
	s_nop 0
	v_xor_b32_e32 v35, vcc_hi, v183
	v_xor_b32_e32 v252, vcc_lo, v182
	v_and_b32_e32 v35, v8, v35
	v_and_b32_e32 v8, v9, v252
	v_mbcnt_lo_u32_b32 v9, v8, 0
	v_mbcnt_hi_u32_b32 v9, v35, v9
	v_cmp_eq_u32_e32 vcc, 0, v9
	s_and_saveexec_b64 s[2:3], vcc
	s_cbranch_execz .LBB23_26
; %bb.25:                               ;   in Loop: Header=BB23_2 Depth=1
	v_bcnt_u32_b32 v8, v8, 0
	v_bcnt_u32_b32 v8, v35, v8
	v_mov_b32_e32 v9, v34
	v_accvgpr_read_b32 v10, a14
	ds_add_u64 v10, v[8:9]
.LBB23_26:                              ;   in Loop: Header=BB23_2 Depth=1
	s_or_b64 exec, exec, s[2:3]
	v_readlane_b32 s2, v255, 31
	v_cndmask_b32_e64 v8, 0, 1, s[48:49]
	v_readlane_b32 s3, v255, 32
	v_cmp_ne_u32_e32 vcc, 0, v8
	s_nop 0
	v_cndmask_b32_e64 v35, 0, 1, s[2:3]
	v_xor_b32_e32 v8, vcc_hi, v175
	v_xor_b32_e32 v9, vcc_lo, v174
	v_cmp_ne_u32_e32 vcc, 0, v35
	v_readlane_b32 s2, v255, 33
	v_and_b32_e32 v8, exec_hi, v8
	v_xor_b32_e32 v35, vcc_hi, v185
	v_readlane_b32 s3, v255, 34
	v_and_b32_e32 v8, v8, v35
	v_xor_b32_e32 v252, vcc_lo, v184
	v_cndmask_b32_e64 v35, 0, 1, s[2:3]
	v_cmp_ne_u32_e32 vcc, 0, v35
	v_readlane_b32 s2, v255, 35
	v_readlane_b32 s3, v255, 36
	v_xor_b32_e32 v35, vcc_hi, v189
	v_and_b32_e32 v9, exec_lo, v9
	v_and_b32_e32 v8, v8, v35
	v_cndmask_b32_e64 v35, 0, 1, s[2:3]
	v_and_b32_e32 v9, v9, v252
	v_xor_b32_e32 v252, vcc_lo, v188
	v_cmp_ne_u32_e32 vcc, 0, v35
	v_readlane_b32 s2, v255, 37
	v_readlane_b32 s3, v255, 38
	v_xor_b32_e32 v35, vcc_hi, v191
	v_and_b32_e32 v8, v8, v35
	v_cndmask_b32_e64 v35, 0, 1, s[2:3]
	v_and_b32_e32 v9, v9, v252
	v_xor_b32_e32 v252, vcc_lo, v190
	v_cmp_ne_u32_e32 vcc, 0, v35
	v_and_b32_e32 v9, v9, v252
	s_nop 0
	v_xor_b32_e32 v35, vcc_hi, v195
	v_and_b32_e32 v8, v8, v35
	v_cndmask_b32_e64 v35, 0, 1, s[64:65]
	v_xor_b32_e32 v252, vcc_lo, v194
	v_cmp_ne_u32_e32 vcc, 0, v35
	v_and_b32_e32 v9, v9, v252
	s_nop 0
	v_xor_b32_e32 v35, vcc_hi, v197
	v_and_b32_e32 v8, v8, v35
	v_cndmask_b32_e64 v35, 0, 1, s[66:67]
	;; [unrolled: 7-line block ×3, first 2 shown]
	v_xor_b32_e32 v252, vcc_lo, v200
	v_cmp_ne_u32_e32 vcc, 0, v35
	v_and_b32_e32 v9, v9, v252
	s_nop 0
	v_xor_b32_e32 v35, vcc_hi, v203
	v_xor_b32_e32 v252, vcc_lo, v202
	v_and_b32_e32 v35, v8, v35
	v_and_b32_e32 v8, v9, v252
	v_mbcnt_lo_u32_b32 v9, v8, 0
	v_mbcnt_hi_u32_b32 v9, v35, v9
	v_cmp_eq_u32_e32 vcc, 0, v9
	s_and_saveexec_b64 s[2:3], vcc
	s_cbranch_execz .LBB23_28
; %bb.27:                               ;   in Loop: Header=BB23_2 Depth=1
	v_bcnt_u32_b32 v8, v8, 0
	v_bcnt_u32_b32 v8, v35, v8
	v_mov_b32_e32 v9, v34
	v_accvgpr_read_b32 v10, a15
	ds_add_u64 v10, v[8:9]
.LBB23_28:                              ;   in Loop: Header=BB23_2 Depth=1
	s_or_b64 exec, exec, s[2:3]
	v_cndmask_b32_e64 v8, 0, 1, s[50:51]
	v_cmp_ne_u32_e32 vcc, 0, v8
	v_cndmask_b32_e64 v35, 0, 1, s[70:71]
	s_nop 0
	v_xor_b32_e32 v8, vcc_hi, v181
	v_xor_b32_e32 v9, vcc_lo, v180
	v_cmp_ne_u32_e32 vcc, 0, v35
	v_and_b32_e32 v8, exec_hi, v8
	v_and_b32_e32 v9, exec_lo, v9
	v_xor_b32_e32 v35, vcc_hi, v205
	v_and_b32_e32 v8, v8, v35
	v_cndmask_b32_e64 v35, 0, 1, s[72:73]
	v_xor_b32_e32 v252, vcc_lo, v204
	v_cmp_ne_u32_e32 vcc, 0, v35
	v_and_b32_e32 v9, v9, v252
	s_nop 0
	v_xor_b32_e32 v35, vcc_hi, v207
	v_and_b32_e32 v8, v8, v35
	v_cndmask_b32_e64 v35, 0, 1, s[74:75]
	v_xor_b32_e32 v252, vcc_lo, v206
	v_cmp_ne_u32_e32 vcc, 0, v35
	v_and_b32_e32 v9, v9, v252
	s_nop 0
	;; [unrolled: 7-line block ×6, first 2 shown]
	v_xor_b32_e32 v35, vcc_hi, v217
	v_xor_b32_e32 v252, vcc_lo, v216
	v_and_b32_e32 v35, v8, v35
	v_and_b32_e32 v8, v9, v252
	v_mbcnt_lo_u32_b32 v9, v8, 0
	v_mbcnt_hi_u32_b32 v9, v35, v9
	v_cmp_eq_u32_e32 vcc, 0, v9
	s_and_saveexec_b64 s[2:3], vcc
	s_cbranch_execz .LBB23_30
; %bb.29:                               ;   in Loop: Header=BB23_2 Depth=1
	v_bcnt_u32_b32 v8, v8, 0
	v_bcnt_u32_b32 v8, v35, v8
	v_mov_b32_e32 v9, v34
	v_accvgpr_read_b32 v10, a16
	ds_add_u64 v10, v[8:9]
.LBB23_30:                              ;   in Loop: Header=BB23_2 Depth=1
	s_or_b64 exec, exec, s[2:3]
	v_cndmask_b32_e64 v8, 0, 1, s[52:53]
	v_cmp_ne_u32_e32 vcc, 0, v8
	v_cndmask_b32_e64 v35, 0, 1, s[84:85]
	s_nop 0
	v_xor_b32_e32 v8, vcc_hi, v187
	v_xor_b32_e32 v9, vcc_lo, v186
	v_cmp_ne_u32_e32 vcc, 0, v35
	v_and_b32_e32 v8, exec_hi, v8
	v_and_b32_e32 v9, exec_lo, v9
	v_xor_b32_e32 v35, vcc_hi, v219
	v_and_b32_e32 v8, v8, v35
	v_cndmask_b32_e64 v35, 0, 1, s[86:87]
	v_xor_b32_e32 v252, vcc_lo, v218
	v_cmp_ne_u32_e32 vcc, 0, v35
	v_and_b32_e32 v9, v9, v252
	s_nop 0
	v_xor_b32_e32 v35, vcc_hi, v221
	v_and_b32_e32 v8, v8, v35
	v_cndmask_b32_e64 v35, 0, 1, s[88:89]
	v_xor_b32_e32 v252, vcc_lo, v220
	v_cmp_ne_u32_e32 vcc, 0, v35
	v_and_b32_e32 v9, v9, v252
	s_nop 0
	;; [unrolled: 7-line block ×6, first 2 shown]
	v_xor_b32_e32 v35, vcc_hi, v231
	v_xor_b32_e32 v252, vcc_lo, v230
	v_and_b32_e32 v35, v8, v35
	v_and_b32_e32 v8, v9, v252
	v_mbcnt_lo_u32_b32 v9, v8, 0
	v_mbcnt_hi_u32_b32 v9, v35, v9
	v_cmp_eq_u32_e32 vcc, 0, v9
	s_and_saveexec_b64 s[2:3], vcc
	s_cbranch_execz .LBB23_32
; %bb.31:                               ;   in Loop: Header=BB23_2 Depth=1
	v_bcnt_u32_b32 v8, v8, 0
	v_bcnt_u32_b32 v8, v35, v8
	v_mov_b32_e32 v9, v34
	v_accvgpr_read_b32 v10, a17
	ds_add_u64 v10, v[8:9]
.LBB23_32:                              ;   in Loop: Header=BB23_2 Depth=1
	s_or_b64 exec, exec, s[2:3]
	v_cndmask_b32_e64 v8, 0, 1, s[54:55]
	v_cmp_ne_u32_e32 vcc, 0, v8
	v_cndmask_b32_e64 v35, 0, 1, s[98:99]
	s_nop 0
	v_xor_b32_e32 v8, vcc_hi, v193
	v_xor_b32_e32 v9, vcc_lo, v192
	v_cmp_ne_u32_e32 vcc, 0, v35
	v_and_b32_e32 v8, exec_hi, v8
	v_and_b32_e32 v9, exec_lo, v9
	v_xor_b32_e32 v35, vcc_hi, v233
	v_and_b32_e32 v8, v8, v35
	v_cndmask_b32_e64 v35, 0, 1, s[0:1]
	v_xor_b32_e32 v252, vcc_lo, v232
	v_cmp_ne_u32_e32 vcc, 0, v35
	v_and_b32_e32 v9, v9, v252
	s_nop 0
	v_xor_b32_e32 v35, vcc_hi, v235
	v_and_b32_e32 v8, v8, v35
	v_cndmask_b32_e64 v35, 0, 1, s[60:61]
	v_xor_b32_e32 v252, vcc_lo, v234
	v_cmp_ne_u32_e32 vcc, 0, v35
	v_and_b32_e32 v9, v9, v252
	s_nop 0
	;; [unrolled: 7-line block ×6, first 2 shown]
	v_xor_b32_e32 v35, vcc_hi, v245
	v_xor_b32_e32 v252, vcc_lo, v244
	v_and_b32_e32 v35, v8, v35
	v_and_b32_e32 v8, v9, v252
	v_mbcnt_lo_u32_b32 v9, v8, 0
	v_mbcnt_hi_u32_b32 v9, v35, v9
	v_cmp_eq_u32_e32 vcc, 0, v9
	s_and_saveexec_b64 s[2:3], vcc
	s_cbranch_execz .LBB23_34
; %bb.33:                               ;   in Loop: Header=BB23_2 Depth=1
	v_bcnt_u32_b32 v8, v8, 0
	v_bcnt_u32_b32 v8, v35, v8
	v_mov_b32_e32 v9, v34
	v_accvgpr_read_b32 v10, a19
	ds_add_u64 v10, v[8:9]
.LBB23_34:                              ;   in Loop: Header=BB23_2 Depth=1
	s_or_b64 exec, exec, s[2:3]
	v_cndmask_b32_e64 v8, 0, 1, s[56:57]
	v_cmp_ne_u32_e32 vcc, 0, v8
	v_cndmask_b32_e64 v35, 0, 1, s[12:13]
	v_accvgpr_read_b32 v10, a22
	v_xor_b32_e32 v8, vcc_hi, v199
	v_xor_b32_e32 v9, vcc_lo, v198
	v_cmp_ne_u32_e32 vcc, 0, v35
	v_and_b32_e32 v8, exec_hi, v8
	v_and_b32_e32 v9, exec_lo, v9
	v_xor_b32_e32 v35, vcc_hi, v247
	v_and_b32_e32 v8, v8, v35
	v_cndmask_b32_e64 v35, 0, 1, s[14:15]
	v_xor_b32_e32 v252, vcc_lo, v246
	v_cmp_ne_u32_e32 vcc, 0, v35
	v_and_b32_e32 v9, v9, v252
	s_nop 0
	v_xor_b32_e32 v35, vcc_hi, v249
	v_and_b32_e32 v8, v8, v35
	v_cndmask_b32_e64 v35, 0, 1, s[16:17]
	v_xor_b32_e32 v252, vcc_lo, v248
	v_cmp_ne_u32_e32 vcc, 0, v35
	v_and_b32_e32 v9, v9, v252
	s_nop 0
	;; [unrolled: 7-line block ×6, first 2 shown]
	v_xor_b32_e32 v35, vcc_hi, v7
	v_xor_b32_e32 v252, vcc_lo, v40
	v_and_b32_e32 v35, v8, v35
	v_and_b32_e32 v8, v9, v252
	v_mbcnt_lo_u32_b32 v9, v8, 0
	v_mbcnt_hi_u32_b32 v9, v35, v9
	v_cmp_eq_u32_e32 vcc, 0, v9
	s_and_saveexec_b64 s[2:3], vcc
	s_cbranch_execz .LBB23_1
; %bb.35:                               ;   in Loop: Header=BB23_2 Depth=1
	v_bcnt_u32_b32 v8, v8, 0
	v_bcnt_u32_b32 v8, v35, v8
	v_mov_b32_e32 v9, v34
	v_accvgpr_read_b32 v10, a21
	ds_add_u64 v10, v[8:9]
	s_branch .LBB23_1
.LBB23_36:
	s_and_saveexec_b64 s[0:1], s[62:63]
	s_cbranch_execz .LBB23_38
; %bb.37:
	v_mov_b32_e32 v1, v0
	ds_read_b64 v[2:3], v1
	v_readlane_b32 s0, v253, 0
	v_readlane_b32 s2, v253, 2
	;; [unrolled: 1-line block ×4, first 2 shown]
	v_accvgpr_read_b32 v4, a0
	v_mov_b32_e32 v0, s2
	v_mov_b32_e32 v1, s3
	v_lshl_or_b32 v4, s0, 8, v4
	v_mov_b32_e32 v5, 0
	v_lshl_add_u64 v[0:1], v[4:5], 3, v[0:1]
	v_readlane_b32 s1, v253, 1
	s_waitcnt lgkmcnt(0)
	global_store_dwordx2 v[0:1], v[2:3], off
.LBB23_38:
	s_endpgm
	.section	.rodata,"a",@progbits
	.p2align	6, 0x0
	.amdhsa_kernel _Z6kernelI9histogramILN6hipcub23BlockHistogramAlgorithmE0EEyLj256ELj16ELj256ELj100EEvPKT0_PS4_
		.amdhsa_group_segment_fixed_size 2048
		.amdhsa_private_segment_fixed_size 0
		.amdhsa_kernarg_size 16
		.amdhsa_user_sgpr_count 2
		.amdhsa_user_sgpr_dispatch_ptr 0
		.amdhsa_user_sgpr_queue_ptr 0
		.amdhsa_user_sgpr_kernarg_segment_ptr 1
		.amdhsa_user_sgpr_dispatch_id 0
		.amdhsa_user_sgpr_kernarg_preload_length 0
		.amdhsa_user_sgpr_kernarg_preload_offset 0
		.amdhsa_user_sgpr_private_segment_size 0
		.amdhsa_uses_dynamic_stack 0
		.amdhsa_enable_private_segment 0
		.amdhsa_system_sgpr_workgroup_id_x 1
		.amdhsa_system_sgpr_workgroup_id_y 0
		.amdhsa_system_sgpr_workgroup_id_z 0
		.amdhsa_system_sgpr_workgroup_info 0
		.amdhsa_system_vgpr_workitem_id 0
		.amdhsa_next_free_vgpr 286
		.amdhsa_next_free_sgpr 100
		.amdhsa_accum_offset 256
		.amdhsa_reserve_vcc 1
		.amdhsa_float_round_mode_32 0
		.amdhsa_float_round_mode_16_64 0
		.amdhsa_float_denorm_mode_32 3
		.amdhsa_float_denorm_mode_16_64 3
		.amdhsa_dx10_clamp 1
		.amdhsa_ieee_mode 1
		.amdhsa_fp16_overflow 0
		.amdhsa_tg_split 0
		.amdhsa_exception_fp_ieee_invalid_op 0
		.amdhsa_exception_fp_denorm_src 0
		.amdhsa_exception_fp_ieee_div_zero 0
		.amdhsa_exception_fp_ieee_overflow 0
		.amdhsa_exception_fp_ieee_underflow 0
		.amdhsa_exception_fp_ieee_inexact 0
		.amdhsa_exception_int_div_zero 0
	.end_amdhsa_kernel
	.section	.text._Z6kernelI9histogramILN6hipcub23BlockHistogramAlgorithmE0EEyLj256ELj16ELj256ELj100EEvPKT0_PS4_,"axG",@progbits,_Z6kernelI9histogramILN6hipcub23BlockHistogramAlgorithmE0EEyLj256ELj16ELj256ELj100EEvPKT0_PS4_,comdat
.Lfunc_end23:
	.size	_Z6kernelI9histogramILN6hipcub23BlockHistogramAlgorithmE0EEyLj256ELj16ELj256ELj100EEvPKT0_PS4_, .Lfunc_end23-_Z6kernelI9histogramILN6hipcub23BlockHistogramAlgorithmE0EEyLj256ELj16ELj256ELj100EEvPKT0_PS4_
                                        ; -- End function
	.section	.AMDGPU.csdata,"",@progbits
; Kernel info:
; codeLenInByte = 11268
; NumSgprs: 106
; NumVgprs: 256
; NumAgprs: 30
; TotalNumVgprs: 286
; ScratchSize: 0
; MemoryBound: 0
; FloatMode: 240
; IeeeMode: 1
; LDSByteSize: 2048 bytes/workgroup (compile time only)
; SGPRBlocks: 13
; VGPRBlocks: 35
; NumSGPRsForWavesPerEU: 106
; NumVGPRsForWavesPerEU: 286
; AccumOffset: 256
; Occupancy: 1
; WaveLimiterHint : 0
; COMPUTE_PGM_RSRC2:SCRATCH_EN: 0
; COMPUTE_PGM_RSRC2:USER_SGPR: 2
; COMPUTE_PGM_RSRC2:TRAP_HANDLER: 0
; COMPUTE_PGM_RSRC2:TGID_X_EN: 1
; COMPUTE_PGM_RSRC2:TGID_Y_EN: 0
; COMPUTE_PGM_RSRC2:TGID_Z_EN: 0
; COMPUTE_PGM_RSRC2:TIDIG_COMP_CNT: 0
; COMPUTE_PGM_RSRC3_GFX90A:ACCUM_OFFSET: 63
; COMPUTE_PGM_RSRC3_GFX90A:TG_SPLIT: 0
	.section	.text._Z6kernelI9histogramILN6hipcub23BlockHistogramAlgorithmE0EEyLj320ELj1ELj320ELj100EEvPKT0_PS4_,"axG",@progbits,_Z6kernelI9histogramILN6hipcub23BlockHistogramAlgorithmE0EEyLj320ELj1ELj320ELj100EEvPKT0_PS4_,comdat
	.protected	_Z6kernelI9histogramILN6hipcub23BlockHistogramAlgorithmE0EEyLj320ELj1ELj320ELj100EEvPKT0_PS4_ ; -- Begin function _Z6kernelI9histogramILN6hipcub23BlockHistogramAlgorithmE0EEyLj320ELj1ELj320ELj100EEvPKT0_PS4_
	.globl	_Z6kernelI9histogramILN6hipcub23BlockHistogramAlgorithmE0EEyLj320ELj1ELj320ELj100EEvPKT0_PS4_
	.p2align	8
	.type	_Z6kernelI9histogramILN6hipcub23BlockHistogramAlgorithmE0EEyLj320ELj1ELj320ELj100EEvPKT0_PS4_,@function
_Z6kernelI9histogramILN6hipcub23BlockHistogramAlgorithmE0EEyLj320ELj1ELj320ELj100EEvPKT0_PS4_: ; @_Z6kernelI9histogramILN6hipcub23BlockHistogramAlgorithmE0EEyLj320ELj1ELj320ELj100EEvPKT0_PS4_
; %bb.0:
	s_load_dwordx4 s[4:7], s[0:1], 0x0
	s_mulk_i32 s2, 0x140
	v_mov_b32_e32 v4, 0
	v_add_u32_e32 v2, s2, v0
	v_mov_b32_e32 v3, v4
	s_waitcnt lgkmcnt(0)
	v_mov_b32_e32 v6, s4
	v_mov_b32_e32 v7, s5
	v_lshl_add_u64 v[6:7], v[2:3], 3, v[6:7]
	global_load_dwordx2 v[18:19], v[6:7], off
	s_movk_i32 s0, 0x140
	v_mov_b32_e32 v7, v4
	v_cmp_gt_u32_e32 vcc, s0, v0
	v_lshlrev_b32_e32 v23, 3, v0
	s_movk_i32 s4, 0x64
	s_waitcnt vmcnt(0)
	v_and_b32_e32 v6, 1, v18
	v_lshlrev_b32_e32 v5, 30, v18
	v_lshl_add_u64 v[0:1], v[6:7], 0, -1
	v_cmp_gt_i64_e64 s[0:1], 0, v[4:5]
	v_not_b32_e32 v7, v5
	v_lshlrev_b32_e32 v5, 29, v18
	v_cndmask_b32_e64 v26, 0, 1, s[0:1]
	v_not_b32_e32 v8, v5
	v_cmp_gt_i64_e64 s[0:1], 0, v[4:5]
	v_lshlrev_b32_e32 v5, 28, v18
	v_not_b32_e32 v10, v5
	v_cndmask_b32_e64 v27, 0, 1, s[0:1]
	v_cmp_gt_i64_e64 s[0:1], 0, v[4:5]
	v_lshlrev_b32_e32 v5, 27, v18
	v_not_b32_e32 v12, v5
	v_cndmask_b32_e64 v28, 0, 1, s[0:1]
	;; [unrolled: 4-line block ×5, first 2 shown]
	v_cmp_gt_i64_e64 s[0:1], 0, v[4:5]
	v_lshlrev_b32_e32 v5, 23, v18
	v_not_b32_e32 v20, v5
	v_lshlrev_b32_e32 v24, 3, v18
	v_cmp_eq_u32_e64 s[2:3], 1, v6
	v_ashrrev_i32_e32 v6, 31, v7
	v_ashrrev_i32_e32 v8, 31, v8
	;; [unrolled: 1-line block ×6, first 2 shown]
	v_cndmask_b32_e64 v32, 0, 1, s[0:1]
	v_ashrrev_i32_e32 v18, 31, v19
	v_ashrrev_i32_e32 v20, 31, v20
	v_cmp_gt_i64_e64 s[0:1], 0, v[4:5]
	v_cndmask_b32_e64 v25, 0, 1, s[2:3]
	v_mov_b32_e32 v7, v6
	v_mov_b32_e32 v9, v8
	v_mov_b32_e32 v11, v10
	v_mov_b32_e32 v13, v12
	v_mov_b32_e32 v15, v14
	v_mov_b32_e32 v17, v16
	v_mov_b32_e32 v19, v18
	v_mov_b32_e32 v21, v20
	v_cndmask_b32_e64 v33, 0, 1, s[0:1]
	s_branch .LBB24_2
.LBB24_1:                               ;   in Loop: Header=BB24_2 Depth=1
	s_or_b64 exec, exec, s[2:3]
	s_add_i32 s4, s4, -1
	s_cmp_lg_u32 s4, 0
	s_waitcnt lgkmcnt(0)
	s_barrier
	s_cbranch_scc0 .LBB24_6
.LBB24_2:                               ; =>This Inner Loop Header: Depth=1
	s_and_saveexec_b64 s[0:1], vcc
	s_cbranch_execz .LBB24_4
; %bb.3:                                ;   in Loop: Header=BB24_2 Depth=1
	v_mov_b32_e32 v5, v4
	ds_write_b64 v23, v[4:5]
.LBB24_4:                               ;   in Loop: Header=BB24_2 Depth=1
	s_or_b64 exec, exec, s[0:1]
	v_cmp_ne_u32_e64 s[0:1], 0, v25
	s_waitcnt lgkmcnt(0)
	s_barrier
	v_xor_b32_e32 v5, s1, v1
	v_xor_b32_e32 v22, s0, v0
	v_cmp_ne_u32_e64 s[0:1], 0, v26
	v_and_b32_e32 v5, exec_hi, v5
	v_and_b32_e32 v22, exec_lo, v22
	v_xor_b32_e32 v34, s1, v7
	v_xor_b32_e32 v35, s0, v6
	v_cmp_ne_u32_e64 s[0:1], 0, v27
	v_and_b32_e32 v5, v5, v34
	v_and_b32_e32 v22, v22, v35
	v_xor_b32_e32 v34, s1, v9
	v_xor_b32_e32 v35, s0, v8
	v_cmp_ne_u32_e64 s[0:1], 0, v28
	v_and_b32_e32 v5, v5, v34
	v_and_b32_e32 v22, v22, v35
	;; [unrolled: 5-line block ×7, first 2 shown]
	v_xor_b32_e32 v35, s0, v20
	v_xor_b32_e32 v34, s1, v21
	v_and_b32_e32 v22, v22, v35
	v_and_b32_e32 v5, v5, v34
	v_mbcnt_lo_u32_b32 v34, v22, 0
	v_mbcnt_hi_u32_b32 v34, v5, v34
	v_cmp_eq_u32_e64 s[0:1], 0, v34
	s_and_saveexec_b64 s[2:3], s[0:1]
	s_cbranch_execz .LBB24_1
; %bb.5:                                ;   in Loop: Header=BB24_2 Depth=1
	v_bcnt_u32_b32 v22, v22, 0
	v_bcnt_u32_b32 v34, v5, v22
	v_mov_b32_e32 v35, v4
	ds_add_u64 v24, v[34:35]
	s_branch .LBB24_1
.LBB24_6:
	s_and_saveexec_b64 s[0:1], vcc
	s_cbranch_execz .LBB24_8
; %bb.7:
	ds_read_b64 v[0:1], v23
	v_mov_b32_e32 v4, s6
	v_mov_b32_e32 v5, s7
	v_lshl_add_u64 v[2:3], v[2:3], 3, v[4:5]
	s_waitcnt lgkmcnt(0)
	global_store_dwordx2 v[2:3], v[0:1], off
.LBB24_8:
	s_endpgm
	.section	.rodata,"a",@progbits
	.p2align	6, 0x0
	.amdhsa_kernel _Z6kernelI9histogramILN6hipcub23BlockHistogramAlgorithmE0EEyLj320ELj1ELj320ELj100EEvPKT0_PS4_
		.amdhsa_group_segment_fixed_size 2560
		.amdhsa_private_segment_fixed_size 0
		.amdhsa_kernarg_size 16
		.amdhsa_user_sgpr_count 2
		.amdhsa_user_sgpr_dispatch_ptr 0
		.amdhsa_user_sgpr_queue_ptr 0
		.amdhsa_user_sgpr_kernarg_segment_ptr 1
		.amdhsa_user_sgpr_dispatch_id 0
		.amdhsa_user_sgpr_kernarg_preload_length 0
		.amdhsa_user_sgpr_kernarg_preload_offset 0
		.amdhsa_user_sgpr_private_segment_size 0
		.amdhsa_uses_dynamic_stack 0
		.amdhsa_enable_private_segment 0
		.amdhsa_system_sgpr_workgroup_id_x 1
		.amdhsa_system_sgpr_workgroup_id_y 0
		.amdhsa_system_sgpr_workgroup_id_z 0
		.amdhsa_system_sgpr_workgroup_info 0
		.amdhsa_system_vgpr_workitem_id 0
		.amdhsa_next_free_vgpr 36
		.amdhsa_next_free_sgpr 8
		.amdhsa_accum_offset 36
		.amdhsa_reserve_vcc 1
		.amdhsa_float_round_mode_32 0
		.amdhsa_float_round_mode_16_64 0
		.amdhsa_float_denorm_mode_32 3
		.amdhsa_float_denorm_mode_16_64 3
		.amdhsa_dx10_clamp 1
		.amdhsa_ieee_mode 1
		.amdhsa_fp16_overflow 0
		.amdhsa_tg_split 0
		.amdhsa_exception_fp_ieee_invalid_op 0
		.amdhsa_exception_fp_denorm_src 0
		.amdhsa_exception_fp_ieee_div_zero 0
		.amdhsa_exception_fp_ieee_overflow 0
		.amdhsa_exception_fp_ieee_underflow 0
		.amdhsa_exception_fp_ieee_inexact 0
		.amdhsa_exception_int_div_zero 0
	.end_amdhsa_kernel
	.section	.text._Z6kernelI9histogramILN6hipcub23BlockHistogramAlgorithmE0EEyLj320ELj1ELj320ELj100EEvPKT0_PS4_,"axG",@progbits,_Z6kernelI9histogramILN6hipcub23BlockHistogramAlgorithmE0EEyLj320ELj1ELj320ELj100EEvPKT0_PS4_,comdat
.Lfunc_end24:
	.size	_Z6kernelI9histogramILN6hipcub23BlockHistogramAlgorithmE0EEyLj320ELj1ELj320ELj100EEvPKT0_PS4_, .Lfunc_end24-_Z6kernelI9histogramILN6hipcub23BlockHistogramAlgorithmE0EEyLj320ELj1ELj320ELj100EEvPKT0_PS4_
                                        ; -- End function
	.section	.AMDGPU.csdata,"",@progbits
; Kernel info:
; codeLenInByte = 752
; NumSgprs: 14
; NumVgprs: 36
; NumAgprs: 0
; TotalNumVgprs: 36
; ScratchSize: 0
; MemoryBound: 0
; FloatMode: 240
; IeeeMode: 1
; LDSByteSize: 2560 bytes/workgroup (compile time only)
; SGPRBlocks: 1
; VGPRBlocks: 4
; NumSGPRsForWavesPerEU: 14
; NumVGPRsForWavesPerEU: 36
; AccumOffset: 36
; Occupancy: 8
; WaveLimiterHint : 0
; COMPUTE_PGM_RSRC2:SCRATCH_EN: 0
; COMPUTE_PGM_RSRC2:USER_SGPR: 2
; COMPUTE_PGM_RSRC2:TRAP_HANDLER: 0
; COMPUTE_PGM_RSRC2:TGID_X_EN: 1
; COMPUTE_PGM_RSRC2:TGID_Y_EN: 0
; COMPUTE_PGM_RSRC2:TGID_Z_EN: 0
; COMPUTE_PGM_RSRC2:TIDIG_COMP_CNT: 0
; COMPUTE_PGM_RSRC3_GFX90A:ACCUM_OFFSET: 8
; COMPUTE_PGM_RSRC3_GFX90A:TG_SPLIT: 0
	.section	.text._Z6kernelI9histogramILN6hipcub23BlockHistogramAlgorithmE0EEyLj320ELj2ELj320ELj100EEvPKT0_PS4_,"axG",@progbits,_Z6kernelI9histogramILN6hipcub23BlockHistogramAlgorithmE0EEyLj320ELj2ELj320ELj100EEvPKT0_PS4_,comdat
	.protected	_Z6kernelI9histogramILN6hipcub23BlockHistogramAlgorithmE0EEyLj320ELj2ELj320ELj100EEvPKT0_PS4_ ; -- Begin function _Z6kernelI9histogramILN6hipcub23BlockHistogramAlgorithmE0EEyLj320ELj2ELj320ELj100EEvPKT0_PS4_
	.globl	_Z6kernelI9histogramILN6hipcub23BlockHistogramAlgorithmE0EEyLj320ELj2ELj320ELj100EEvPKT0_PS4_
	.p2align	8
	.type	_Z6kernelI9histogramILN6hipcub23BlockHistogramAlgorithmE0EEyLj320ELj2ELj320ELj100EEvPKT0_PS4_,@function
_Z6kernelI9histogramILN6hipcub23BlockHistogramAlgorithmE0EEyLj320ELj2ELj320ELj100EEvPKT0_PS4_: ; @_Z6kernelI9histogramILN6hipcub23BlockHistogramAlgorithmE0EEyLj320ELj2ELj320ELj100EEvPKT0_PS4_
; %bb.0:
	s_load_dwordx4 s[40:43], s[0:1], 0x0
	s_mulk_i32 s2, 0x140
	v_add_u32_e32 v2, s2, v0
	v_mov_b32_e32 v4, 0
	v_lshlrev_b32_e32 v8, 1, v2
	s_waitcnt lgkmcnt(0)
	v_mov_b32_e32 v6, s40
	v_mov_b32_e32 v7, s41
	;; [unrolled: 1-line block ×3, first 2 shown]
	v_lshl_add_u64 v[6:7], v[8:9], 3, v[6:7]
	global_load_dwordx4 v[30:33], v[6:7], off
	s_movk_i32 s0, 0x140
	v_mov_b32_e32 v7, v4
	v_cmp_gt_u32_e32 vcc, s0, v0
	v_lshlrev_b32_e32 v39, 3, v0
	s_movk_i32 s33, 0x64
	s_waitcnt vmcnt(0)
	v_lshlrev_b32_e32 v5, 30, v30
	v_and_b32_e32 v6, 1, v30
	v_and_b32_e32 v8, 1, v32
	v_cmp_gt_i64_e64 s[2:3], 0, v[4:5]
	v_not_b32_e32 v3, v5
	v_lshlrev_b32_e32 v5, 29, v30
	v_lshl_add_u64 v[0:1], v[6:7], 0, -1
	v_cmp_eq_u32_e64 s[0:1], 1, v6
	v_lshl_add_u64 v[6:7], v[8:9], 0, -1
	v_cmp_gt_i64_e64 s[6:7], 0, v[4:5]
	v_not_b32_e32 v9, v5
	v_lshlrev_b32_e32 v5, 28, v30
	v_cmp_gt_i64_e64 s[8:9], 0, v[4:5]
	v_not_b32_e32 v11, v5
	v_lshlrev_b32_e32 v5, 27, v30
	;; [unrolled: 3-line block ×9, first 2 shown]
	v_ashrrev_i32_e32 v26, 31, v25
	v_cmp_gt_i64_e64 s[24:25], 0, v[4:5]
	v_not_b32_e32 v25, v5
	v_lshlrev_b32_e32 v5, 27, v32
	v_ashrrev_i32_e32 v28, 31, v25
	v_cmp_gt_i64_e64 s[26:27], 0, v[4:5]
	v_not_b32_e32 v25, v5
	v_lshlrev_b32_e32 v5, 26, v32
	v_lshlrev_b32_e32 v41, 3, v30
	v_ashrrev_i32_e32 v30, 31, v25
	v_cmp_gt_i64_e64 s[28:29], 0, v[4:5]
	v_not_b32_e32 v25, v5
	v_lshlrev_b32_e32 v5, 25, v32
	v_cmp_gt_i64_e64 s[30:31], 0, v[4:5]
	v_not_b32_e32 v27, v5
	v_lshlrev_b32_e32 v5, 24, v32
	;; [unrolled: 3-line block ×4, first 2 shown]
	v_cmp_eq_u32_e64 s[4:5], 1, v8
	v_ashrrev_i32_e32 v8, 31, v3
	v_ashrrev_i32_e32 v10, 31, v9
	;; [unrolled: 1-line block ×13, first 2 shown]
	v_mov_b32_e32 v3, v8
	v_mov_b32_e32 v9, v10
	;; [unrolled: 1-line block ×16, first 2 shown]
	s_branch .LBB25_2
.LBB25_1:                               ;   in Loop: Header=BB25_2 Depth=1
	s_or_b64 exec, exec, s[40:41]
	s_add_i32 s33, s33, -1
	s_cmp_lg_u32 s33, 0
	s_waitcnt lgkmcnt(0)
	s_barrier
	s_cbranch_scc0 .LBB25_8
.LBB25_2:                               ; =>This Inner Loop Header: Depth=1
	s_and_saveexec_b64 s[38:39], vcc
	s_cbranch_execz .LBB25_4
; %bb.3:                                ;   in Loop: Header=BB25_2 Depth=1
	v_mov_b32_e32 v5, v4
	ds_write_b64 v39, v[4:5]
.LBB25_4:                               ;   in Loop: Header=BB25_2 Depth=1
	s_or_b64 exec, exec, s[38:39]
	v_cndmask_b32_e64 v5, 0, 1, s[0:1]
	v_cmp_ne_u32_e64 s[38:39], 0, v5
	v_cndmask_b32_e64 v43, 0, 1, s[2:3]
	s_waitcnt lgkmcnt(0)
	v_xor_b32_e32 v5, s39, v1
	v_xor_b32_e32 v40, s38, v0
	v_cmp_ne_u32_e64 s[38:39], 0, v43
	v_and_b32_e32 v5, exec_hi, v5
	v_and_b32_e32 v40, exec_lo, v40
	v_xor_b32_e32 v43, s39, v3
	v_and_b32_e32 v5, v5, v43
	v_cndmask_b32_e64 v43, 0, 1, s[6:7]
	v_xor_b32_e32 v44, s38, v8
	v_cmp_ne_u32_e64 s[38:39], 0, v43
	v_and_b32_e32 v40, v40, v44
	s_barrier
	v_xor_b32_e32 v43, s39, v9
	v_and_b32_e32 v5, v5, v43
	v_cndmask_b32_e64 v43, 0, 1, s[8:9]
	v_xor_b32_e32 v44, s38, v10
	v_cmp_ne_u32_e64 s[38:39], 0, v43
	v_and_b32_e32 v40, v40, v44
	s_nop 0
	v_xor_b32_e32 v43, s39, v11
	v_and_b32_e32 v5, v5, v43
	v_cndmask_b32_e64 v43, 0, 1, s[10:11]
	v_xor_b32_e32 v44, s38, v12
	v_cmp_ne_u32_e64 s[38:39], 0, v43
	v_and_b32_e32 v40, v40, v44
	s_nop 0
	;; [unrolled: 7-line block ×6, first 2 shown]
	v_xor_b32_e32 v44, s38, v22
	v_xor_b32_e32 v43, s39, v21
	v_and_b32_e32 v40, v40, v44
	v_and_b32_e32 v5, v5, v43
	v_mbcnt_lo_u32_b32 v43, v40, 0
	v_mbcnt_hi_u32_b32 v43, v5, v43
	v_cmp_eq_u32_e64 s[38:39], 0, v43
	s_and_saveexec_b64 s[40:41], s[38:39]
	s_cbranch_execz .LBB25_6
; %bb.5:                                ;   in Loop: Header=BB25_2 Depth=1
	v_bcnt_u32_b32 v40, v40, 0
	v_bcnt_u32_b32 v44, v5, v40
	v_mov_b32_e32 v45, v4
	ds_add_u64 v41, v[44:45]
.LBB25_6:                               ;   in Loop: Header=BB25_2 Depth=1
	s_or_b64 exec, exec, s[40:41]
	v_cndmask_b32_e64 v5, 0, 1, s[4:5]
	v_cmp_ne_u32_e64 s[38:39], 0, v5
	v_cndmask_b32_e64 v43, 0, 1, s[20:21]
	s_nop 0
	v_xor_b32_e32 v5, s39, v7
	v_xor_b32_e32 v40, s38, v6
	v_cmp_ne_u32_e64 s[38:39], 0, v43
	v_and_b32_e32 v5, exec_hi, v5
	v_and_b32_e32 v40, exec_lo, v40
	v_xor_b32_e32 v43, s39, v23
	v_and_b32_e32 v5, v5, v43
	v_cndmask_b32_e64 v43, 0, 1, s[22:23]
	v_xor_b32_e32 v44, s38, v24
	v_cmp_ne_u32_e64 s[38:39], 0, v43
	v_and_b32_e32 v40, v40, v44
	s_nop 0
	v_xor_b32_e32 v43, s39, v25
	v_and_b32_e32 v5, v5, v43
	v_cndmask_b32_e64 v43, 0, 1, s[24:25]
	v_xor_b32_e32 v44, s38, v26
	v_cmp_ne_u32_e64 s[38:39], 0, v43
	v_and_b32_e32 v40, v40, v44
	s_nop 0
	v_xor_b32_e32 v43, s39, v27
	v_and_b32_e32 v5, v5, v43
	v_cndmask_b32_e64 v43, 0, 1, s[26:27]
	v_xor_b32_e32 v44, s38, v28
	v_cmp_ne_u32_e64 s[38:39], 0, v43
	v_and_b32_e32 v40, v40, v44
	s_nop 0
	v_xor_b32_e32 v43, s39, v29
	v_and_b32_e32 v5, v5, v43
	v_cndmask_b32_e64 v43, 0, 1, s[28:29]
	v_xor_b32_e32 v44, s38, v30
	v_cmp_ne_u32_e64 s[38:39], 0, v43
	v_and_b32_e32 v40, v40, v44
	s_nop 0
	v_xor_b32_e32 v43, s39, v31
	v_and_b32_e32 v5, v5, v43
	v_cndmask_b32_e64 v43, 0, 1, s[30:31]
	v_xor_b32_e32 v44, s38, v32
	v_cmp_ne_u32_e64 s[38:39], 0, v43
	v_and_b32_e32 v40, v40, v44
	s_nop 0
	v_xor_b32_e32 v43, s39, v33
	v_and_b32_e32 v5, v5, v43
	v_cndmask_b32_e64 v43, 0, 1, s[34:35]
	v_xor_b32_e32 v44, s38, v34
	v_cmp_ne_u32_e64 s[38:39], 0, v43
	v_and_b32_e32 v40, v40, v44
	s_nop 0
	v_xor_b32_e32 v43, s39, v35
	v_and_b32_e32 v5, v5, v43
	v_cndmask_b32_e64 v43, 0, 1, s[36:37]
	v_xor_b32_e32 v44, s38, v36
	v_cmp_ne_u32_e64 s[38:39], 0, v43
	v_and_b32_e32 v40, v40, v44
	s_nop 0
	v_xor_b32_e32 v44, s38, v38
	v_xor_b32_e32 v43, s39, v37
	v_and_b32_e32 v40, v40, v44
	v_and_b32_e32 v5, v5, v43
	v_mbcnt_lo_u32_b32 v43, v40, 0
	v_mbcnt_hi_u32_b32 v43, v5, v43
	v_cmp_eq_u32_e64 s[38:39], 0, v43
	s_and_saveexec_b64 s[40:41], s[38:39]
	s_cbranch_execz .LBB25_1
; %bb.7:                                ;   in Loop: Header=BB25_2 Depth=1
	v_bcnt_u32_b32 v40, v40, 0
	v_bcnt_u32_b32 v44, v5, v40
	v_mov_b32_e32 v45, v4
	ds_add_u64 v42, v[44:45]
	s_branch .LBB25_1
.LBB25_8:
	s_and_saveexec_b64 s[0:1], vcc
	s_cbranch_execz .LBB25_10
; %bb.9:
	ds_read_b64 v[0:1], v39
	v_mov_b32_e32 v4, s42
	v_mov_b32_e32 v5, s43
	;; [unrolled: 1-line block ×3, first 2 shown]
	v_lshl_add_u64 v[2:3], v[2:3], 3, v[4:5]
	s_waitcnt lgkmcnt(0)
	global_store_dwordx2 v[2:3], v[0:1], off
.LBB25_10:
	s_endpgm
	.section	.rodata,"a",@progbits
	.p2align	6, 0x0
	.amdhsa_kernel _Z6kernelI9histogramILN6hipcub23BlockHistogramAlgorithmE0EEyLj320ELj2ELj320ELj100EEvPKT0_PS4_
		.amdhsa_group_segment_fixed_size 2560
		.amdhsa_private_segment_fixed_size 0
		.amdhsa_kernarg_size 16
		.amdhsa_user_sgpr_count 2
		.amdhsa_user_sgpr_dispatch_ptr 0
		.amdhsa_user_sgpr_queue_ptr 0
		.amdhsa_user_sgpr_kernarg_segment_ptr 1
		.amdhsa_user_sgpr_dispatch_id 0
		.amdhsa_user_sgpr_kernarg_preload_length 0
		.amdhsa_user_sgpr_kernarg_preload_offset 0
		.amdhsa_user_sgpr_private_segment_size 0
		.amdhsa_uses_dynamic_stack 0
		.amdhsa_enable_private_segment 0
		.amdhsa_system_sgpr_workgroup_id_x 1
		.amdhsa_system_sgpr_workgroup_id_y 0
		.amdhsa_system_sgpr_workgroup_id_z 0
		.amdhsa_system_sgpr_workgroup_info 0
		.amdhsa_system_vgpr_workitem_id 0
		.amdhsa_next_free_vgpr 46
		.amdhsa_next_free_sgpr 44
		.amdhsa_accum_offset 48
		.amdhsa_reserve_vcc 1
		.amdhsa_float_round_mode_32 0
		.amdhsa_float_round_mode_16_64 0
		.amdhsa_float_denorm_mode_32 3
		.amdhsa_float_denorm_mode_16_64 3
		.amdhsa_dx10_clamp 1
		.amdhsa_ieee_mode 1
		.amdhsa_fp16_overflow 0
		.amdhsa_tg_split 0
		.amdhsa_exception_fp_ieee_invalid_op 0
		.amdhsa_exception_fp_denorm_src 0
		.amdhsa_exception_fp_ieee_div_zero 0
		.amdhsa_exception_fp_ieee_overflow 0
		.amdhsa_exception_fp_ieee_underflow 0
		.amdhsa_exception_fp_ieee_inexact 0
		.amdhsa_exception_int_div_zero 0
	.end_amdhsa_kernel
	.section	.text._Z6kernelI9histogramILN6hipcub23BlockHistogramAlgorithmE0EEyLj320ELj2ELj320ELj100EEvPKT0_PS4_,"axG",@progbits,_Z6kernelI9histogramILN6hipcub23BlockHistogramAlgorithmE0EEyLj320ELj2ELj320ELj100EEvPKT0_PS4_,comdat
.Lfunc_end25:
	.size	_Z6kernelI9histogramILN6hipcub23BlockHistogramAlgorithmE0EEyLj320ELj2ELj320ELj100EEvPKT0_PS4_, .Lfunc_end25-_Z6kernelI9histogramILN6hipcub23BlockHistogramAlgorithmE0EEyLj320ELj2ELj320ELj100EEvPKT0_PS4_
                                        ; -- End function
	.section	.AMDGPU.csdata,"",@progbits
; Kernel info:
; codeLenInByte = 1384
; NumSgprs: 50
; NumVgprs: 46
; NumAgprs: 0
; TotalNumVgprs: 46
; ScratchSize: 0
; MemoryBound: 0
; FloatMode: 240
; IeeeMode: 1
; LDSByteSize: 2560 bytes/workgroup (compile time only)
; SGPRBlocks: 6
; VGPRBlocks: 5
; NumSGPRsForWavesPerEU: 50
; NumVGPRsForWavesPerEU: 46
; AccumOffset: 48
; Occupancy: 8
; WaveLimiterHint : 0
; COMPUTE_PGM_RSRC2:SCRATCH_EN: 0
; COMPUTE_PGM_RSRC2:USER_SGPR: 2
; COMPUTE_PGM_RSRC2:TRAP_HANDLER: 0
; COMPUTE_PGM_RSRC2:TGID_X_EN: 1
; COMPUTE_PGM_RSRC2:TGID_Y_EN: 0
; COMPUTE_PGM_RSRC2:TGID_Z_EN: 0
; COMPUTE_PGM_RSRC2:TIDIG_COMP_CNT: 0
; COMPUTE_PGM_RSRC3_GFX90A:ACCUM_OFFSET: 11
; COMPUTE_PGM_RSRC3_GFX90A:TG_SPLIT: 0
	.section	.text._Z6kernelI9histogramILN6hipcub23BlockHistogramAlgorithmE0EEyLj320ELj3ELj320ELj100EEvPKT0_PS4_,"axG",@progbits,_Z6kernelI9histogramILN6hipcub23BlockHistogramAlgorithmE0EEyLj320ELj3ELj320ELj100EEvPKT0_PS4_,comdat
	.protected	_Z6kernelI9histogramILN6hipcub23BlockHistogramAlgorithmE0EEyLj320ELj3ELj320ELj100EEvPKT0_PS4_ ; -- Begin function _Z6kernelI9histogramILN6hipcub23BlockHistogramAlgorithmE0EEyLj320ELj3ELj320ELj100EEvPKT0_PS4_
	.globl	_Z6kernelI9histogramILN6hipcub23BlockHistogramAlgorithmE0EEyLj320ELj3ELj320ELj100EEvPKT0_PS4_
	.p2align	8
	.type	_Z6kernelI9histogramILN6hipcub23BlockHistogramAlgorithmE0EEyLj320ELj3ELj320ELj100EEvPKT0_PS4_,@function
_Z6kernelI9histogramILN6hipcub23BlockHistogramAlgorithmE0EEyLj320ELj3ELj320ELj100EEvPKT0_PS4_: ; @_Z6kernelI9histogramILN6hipcub23BlockHistogramAlgorithmE0EEyLj320ELj3ELj320ELj100EEvPKT0_PS4_
; %bb.0:
	s_load_dwordx4 s[56:59], s[0:1], 0x0
	s_mulk_i32 s2, 0x140
	v_add_u32_e32 v2, s2, v0
	v_mov_b32_e32 v4, 0
	v_lshl_add_u32 v6, v2, 1, v2
	v_mov_b32_e32 v7, v4
	s_waitcnt lgkmcnt(0)
	v_lshl_add_u64 v[8:9], v[6:7], 3, s[56:57]
	v_add_u32_e32 v10, 1, v6
	v_mov_b32_e32 v11, v4
	v_lshl_add_u64 v[10:11], v[10:11], 3, s[56:57]
	v_add_u32_e32 v6, 2, v6
	global_load_dwordx2 v[58:59], v[8:9], off
	v_lshl_add_u64 v[6:7], v[6:7], 3, s[56:57]
	global_load_dwordx2 v[56:57], v[10:11], off
	global_load_dwordx2 v[54:55], v[6:7], off
	s_movk_i32 s0, 0x140
	v_mov_b32_e32 v9, v4
	v_mov_b32_e32 v11, v4
	;; [unrolled: 1-line block ×3, first 2 shown]
	v_cmp_gt_u32_e32 vcc, s0, v0
	s_waitcnt vmcnt(1)
	v_lshlrev_b32_e32 v57, 3, v0
	s_movk_i32 s33, 0x64
	v_lshlrev_b32_e32 v5, 30, v58
	v_and_b32_e32 v8, 1, v58
	v_and_b32_e32 v10, 1, v56
	s_waitcnt vmcnt(0)
	v_and_b32_e32 v12, 1, v54
	v_cmp_gt_i64_e64 s[2:3], 0, v[4:5]
	v_not_b32_e32 v1, v5
	v_lshlrev_b32_e32 v5, 29, v58
	v_lshl_add_u64 v[6:7], v[8:9], 0, -1
	v_cmp_eq_u32_e64 s[0:1], 1, v8
	v_lshl_add_u64 v[8:9], v[10:11], 0, -1
	v_cmp_eq_u32_e64 s[4:5], 1, v10
	;; [unrolled: 2-line block ×3, first 2 shown]
	v_ashrrev_i32_e32 v12, 31, v1
	v_cmp_gt_i64_e64 s[8:9], 0, v[4:5]
	v_not_b32_e32 v1, v5
	v_lshlrev_b32_e32 v5, 28, v58
	v_ashrrev_i32_e32 v14, 31, v1
	v_cmp_gt_i64_e64 s[10:11], 0, v[4:5]
	v_not_b32_e32 v1, v5
	v_lshlrev_b32_e32 v5, 27, v58
	;; [unrolled: 4-line block ×21, first 2 shown]
	v_lshlrev_b32_e32 v59, 3, v58
	v_ashrrev_i32_e32 v58, 31, v1
	v_cmp_gt_i64_e64 s[52:53], 0, v[4:5]
	v_not_b32_e32 v1, v5
	v_lshlrev_b32_e32 v5, 23, v54
	v_not_b32_e32 v0, v5
	v_lshlrev_b32_e32 v61, 3, v54
	v_ashrrev_i32_e32 v54, 31, v1
	v_ashrrev_i32_e32 v0, 31, v0
	v_lshlrev_b32_e32 v60, 3, v56
	v_cmp_gt_i64_e64 s[54:55], 0, v[4:5]
	v_mov_b32_e32 v1, v12
	v_mov_b32_e32 v3, v14
	;; [unrolled: 1-line block ×24, first 2 shown]
	s_branch .LBB26_2
.LBB26_1:                               ;   in Loop: Header=BB26_2 Depth=1
	s_or_b64 exec, exec, s[60:61]
	s_add_i32 s33, s33, -1
	s_cmp_lg_u32 s33, 0
	s_waitcnt lgkmcnt(0)
	s_barrier
	s_cbranch_scc0 .LBB26_10
.LBB26_2:                               ; =>This Inner Loop Header: Depth=1
	s_and_saveexec_b64 s[56:57], vcc
	s_cbranch_execz .LBB26_4
; %bb.3:                                ;   in Loop: Header=BB26_2 Depth=1
	v_mov_b32_e32 v5, v4
	ds_write_b64 v57, v[4:5]
.LBB26_4:                               ;   in Loop: Header=BB26_2 Depth=1
	s_or_b64 exec, exec, s[56:57]
	v_cndmask_b32_e64 v5, 0, 1, s[0:1]
	v_cmp_ne_u32_e64 s[56:57], 0, v5
	v_cndmask_b32_e64 v62, 0, 1, s[2:3]
	s_waitcnt lgkmcnt(0)
	v_xor_b32_e32 v5, s57, v7
	v_xor_b32_e32 v56, s56, v6
	v_cmp_ne_u32_e64 s[56:57], 0, v62
	v_and_b32_e32 v5, exec_hi, v5
	v_and_b32_e32 v56, exec_lo, v56
	v_xor_b32_e32 v62, s57, v1
	v_and_b32_e32 v5, v5, v62
	v_cndmask_b32_e64 v62, 0, 1, s[8:9]
	v_xor_b32_e32 v63, s56, v12
	v_cmp_ne_u32_e64 s[56:57], 0, v62
	v_and_b32_e32 v56, v56, v63
	s_barrier
	v_xor_b32_e32 v62, s57, v3
	v_and_b32_e32 v5, v5, v62
	v_cndmask_b32_e64 v62, 0, 1, s[10:11]
	v_xor_b32_e32 v63, s56, v14
	v_cmp_ne_u32_e64 s[56:57], 0, v62
	v_and_b32_e32 v56, v56, v63
	s_nop 0
	v_xor_b32_e32 v62, s57, v13
	v_and_b32_e32 v5, v5, v62
	v_cndmask_b32_e64 v62, 0, 1, s[12:13]
	v_xor_b32_e32 v63, s56, v16
	v_cmp_ne_u32_e64 s[56:57], 0, v62
	v_and_b32_e32 v56, v56, v63
	s_nop 0
	;; [unrolled: 7-line block ×6, first 2 shown]
	v_xor_b32_e32 v63, s56, v26
	v_xor_b32_e32 v62, s57, v23
	v_and_b32_e32 v56, v56, v63
	v_and_b32_e32 v5, v5, v62
	v_mbcnt_lo_u32_b32 v62, v56, 0
	v_mbcnt_hi_u32_b32 v62, v5, v62
	v_cmp_eq_u32_e64 s[56:57], 0, v62
	s_and_saveexec_b64 s[60:61], s[56:57]
	s_cbranch_execz .LBB26_6
; %bb.5:                                ;   in Loop: Header=BB26_2 Depth=1
	v_bcnt_u32_b32 v56, v56, 0
	v_bcnt_u32_b32 v62, v5, v56
	v_mov_b32_e32 v63, v4
	ds_add_u64 v59, v[62:63]
.LBB26_6:                               ;   in Loop: Header=BB26_2 Depth=1
	s_or_b64 exec, exec, s[60:61]
	v_cndmask_b32_e64 v5, 0, 1, s[4:5]
	v_cmp_ne_u32_e64 s[56:57], 0, v5
	v_cndmask_b32_e64 v62, 0, 1, s[22:23]
	s_nop 0
	v_xor_b32_e32 v5, s57, v9
	v_xor_b32_e32 v56, s56, v8
	v_cmp_ne_u32_e64 s[56:57], 0, v62
	v_and_b32_e32 v5, exec_hi, v5
	v_and_b32_e32 v56, exec_lo, v56
	v_xor_b32_e32 v62, s57, v25
	v_and_b32_e32 v5, v5, v62
	v_cndmask_b32_e64 v62, 0, 1, s[24:25]
	v_xor_b32_e32 v63, s56, v28
	v_cmp_ne_u32_e64 s[56:57], 0, v62
	v_and_b32_e32 v56, v56, v63
	s_nop 0
	v_xor_b32_e32 v62, s57, v27
	v_and_b32_e32 v5, v5, v62
	v_cndmask_b32_e64 v62, 0, 1, s[26:27]
	v_xor_b32_e32 v63, s56, v30
	v_cmp_ne_u32_e64 s[56:57], 0, v62
	v_and_b32_e32 v56, v56, v63
	s_nop 0
	;; [unrolled: 7-line block ×7, first 2 shown]
	v_xor_b32_e32 v63, s56, v42
	v_xor_b32_e32 v62, s57, v39
	v_and_b32_e32 v56, v56, v63
	v_and_b32_e32 v5, v5, v62
	v_mbcnt_lo_u32_b32 v62, v56, 0
	v_mbcnt_hi_u32_b32 v62, v5, v62
	v_cmp_eq_u32_e64 s[56:57], 0, v62
	s_and_saveexec_b64 s[60:61], s[56:57]
	s_cbranch_execz .LBB26_8
; %bb.7:                                ;   in Loop: Header=BB26_2 Depth=1
	v_bcnt_u32_b32 v56, v56, 0
	v_bcnt_u32_b32 v62, v5, v56
	v_mov_b32_e32 v63, v4
	ds_add_u64 v60, v[62:63]
.LBB26_8:                               ;   in Loop: Header=BB26_2 Depth=1
	s_or_b64 exec, exec, s[60:61]
	v_cndmask_b32_e64 v5, 0, 1, s[6:7]
	v_cmp_ne_u32_e64 s[56:57], 0, v5
	v_cndmask_b32_e64 v62, 0, 1, s[40:41]
	s_nop 0
	v_xor_b32_e32 v5, s57, v11
	v_xor_b32_e32 v56, s56, v10
	v_cmp_ne_u32_e64 s[56:57], 0, v62
	v_and_b32_e32 v5, exec_hi, v5
	v_and_b32_e32 v56, exec_lo, v56
	v_xor_b32_e32 v62, s57, v41
	v_and_b32_e32 v5, v5, v62
	v_cndmask_b32_e64 v62, 0, 1, s[42:43]
	v_xor_b32_e32 v63, s56, v44
	v_cmp_ne_u32_e64 s[56:57], 0, v62
	v_and_b32_e32 v56, v56, v63
	s_nop 0
	v_xor_b32_e32 v62, s57, v43
	v_and_b32_e32 v5, v5, v62
	v_cndmask_b32_e64 v62, 0, 1, s[44:45]
	v_xor_b32_e32 v63, s56, v46
	v_cmp_ne_u32_e64 s[56:57], 0, v62
	v_and_b32_e32 v56, v56, v63
	s_nop 0
	v_xor_b32_e32 v62, s57, v45
	v_and_b32_e32 v5, v5, v62
	v_cndmask_b32_e64 v62, 0, 1, s[46:47]
	v_xor_b32_e32 v63, s56, v48
	v_cmp_ne_u32_e64 s[56:57], 0, v62
	v_and_b32_e32 v56, v56, v63
	s_nop 0
	v_xor_b32_e32 v62, s57, v47
	v_and_b32_e32 v5, v5, v62
	v_cndmask_b32_e64 v62, 0, 1, s[48:49]
	v_xor_b32_e32 v63, s56, v50
	v_cmp_ne_u32_e64 s[56:57], 0, v62
	v_and_b32_e32 v56, v56, v63
	s_nop 0
	v_xor_b32_e32 v62, s57, v49
	v_and_b32_e32 v5, v5, v62
	v_cndmask_b32_e64 v62, 0, 1, s[50:51]
	v_xor_b32_e32 v63, s56, v52
	v_cmp_ne_u32_e64 s[56:57], 0, v62
	v_and_b32_e32 v56, v56, v63
	s_nop 0
	v_xor_b32_e32 v62, s57, v51
	v_and_b32_e32 v5, v5, v62
	v_cndmask_b32_e64 v62, 0, 1, s[52:53]
	v_xor_b32_e32 v63, s56, v58
	v_cmp_ne_u32_e64 s[56:57], 0, v62
	v_and_b32_e32 v56, v56, v63
	s_nop 0
	v_xor_b32_e32 v62, s57, v53
	v_and_b32_e32 v5, v5, v62
	v_cndmask_b32_e64 v62, 0, 1, s[54:55]
	v_xor_b32_e32 v63, s56, v54
	v_cmp_ne_u32_e64 s[56:57], 0, v62
	v_and_b32_e32 v56, v56, v63
	s_nop 0
	v_xor_b32_e32 v63, s56, v0
	v_xor_b32_e32 v62, s57, v55
	v_and_b32_e32 v56, v56, v63
	v_and_b32_e32 v5, v5, v62
	v_mbcnt_lo_u32_b32 v62, v56, 0
	v_mbcnt_hi_u32_b32 v62, v5, v62
	v_cmp_eq_u32_e64 s[56:57], 0, v62
	s_and_saveexec_b64 s[60:61], s[56:57]
	s_cbranch_execz .LBB26_1
; %bb.9:                                ;   in Loop: Header=BB26_2 Depth=1
	v_bcnt_u32_b32 v56, v56, 0
	v_bcnt_u32_b32 v62, v5, v56
	v_mov_b32_e32 v63, v4
	ds_add_u64 v61, v[62:63]
	s_branch .LBB26_1
.LBB26_10:
	s_and_saveexec_b64 s[0:1], vcc
	s_cbranch_execz .LBB26_12
; %bb.11:
	ds_read_b64 v[0:1], v57
	v_mov_b32_e32 v4, s58
	v_mov_b32_e32 v5, s59
	;; [unrolled: 1-line block ×3, first 2 shown]
	v_lshl_add_u64 v[2:3], v[2:3], 3, v[4:5]
	s_waitcnt lgkmcnt(0)
	global_store_dwordx2 v[2:3], v[0:1], off
.LBB26_12:
	s_endpgm
	.section	.rodata,"a",@progbits
	.p2align	6, 0x0
	.amdhsa_kernel _Z6kernelI9histogramILN6hipcub23BlockHistogramAlgorithmE0EEyLj320ELj3ELj320ELj100EEvPKT0_PS4_
		.amdhsa_group_segment_fixed_size 2560
		.amdhsa_private_segment_fixed_size 0
		.amdhsa_kernarg_size 16
		.amdhsa_user_sgpr_count 2
		.amdhsa_user_sgpr_dispatch_ptr 0
		.amdhsa_user_sgpr_queue_ptr 0
		.amdhsa_user_sgpr_kernarg_segment_ptr 1
		.amdhsa_user_sgpr_dispatch_id 0
		.amdhsa_user_sgpr_kernarg_preload_length 0
		.amdhsa_user_sgpr_kernarg_preload_offset 0
		.amdhsa_user_sgpr_private_segment_size 0
		.amdhsa_uses_dynamic_stack 0
		.amdhsa_enable_private_segment 0
		.amdhsa_system_sgpr_workgroup_id_x 1
		.amdhsa_system_sgpr_workgroup_id_y 0
		.amdhsa_system_sgpr_workgroup_id_z 0
		.amdhsa_system_sgpr_workgroup_info 0
		.amdhsa_system_vgpr_workitem_id 0
		.amdhsa_next_free_vgpr 64
		.amdhsa_next_free_sgpr 62
		.amdhsa_accum_offset 64
		.amdhsa_reserve_vcc 1
		.amdhsa_float_round_mode_32 0
		.amdhsa_float_round_mode_16_64 0
		.amdhsa_float_denorm_mode_32 3
		.amdhsa_float_denorm_mode_16_64 3
		.amdhsa_dx10_clamp 1
		.amdhsa_ieee_mode 1
		.amdhsa_fp16_overflow 0
		.amdhsa_tg_split 0
		.amdhsa_exception_fp_ieee_invalid_op 0
		.amdhsa_exception_fp_denorm_src 0
		.amdhsa_exception_fp_ieee_div_zero 0
		.amdhsa_exception_fp_ieee_overflow 0
		.amdhsa_exception_fp_ieee_underflow 0
		.amdhsa_exception_fp_ieee_inexact 0
		.amdhsa_exception_int_div_zero 0
	.end_amdhsa_kernel
	.section	.text._Z6kernelI9histogramILN6hipcub23BlockHistogramAlgorithmE0EEyLj320ELj3ELj320ELj100EEvPKT0_PS4_,"axG",@progbits,_Z6kernelI9histogramILN6hipcub23BlockHistogramAlgorithmE0EEyLj320ELj3ELj320ELj100EEvPKT0_PS4_,comdat
.Lfunc_end26:
	.size	_Z6kernelI9histogramILN6hipcub23BlockHistogramAlgorithmE0EEyLj320ELj3ELj320ELj100EEvPKT0_PS4_, .Lfunc_end26-_Z6kernelI9histogramILN6hipcub23BlockHistogramAlgorithmE0EEyLj320ELj3ELj320ELj100EEvPKT0_PS4_
                                        ; -- End function
	.section	.AMDGPU.csdata,"",@progbits
; Kernel info:
; codeLenInByte = 2036
; NumSgprs: 68
; NumVgprs: 64
; NumAgprs: 0
; TotalNumVgprs: 64
; ScratchSize: 0
; MemoryBound: 0
; FloatMode: 240
; IeeeMode: 1
; LDSByteSize: 2560 bytes/workgroup (compile time only)
; SGPRBlocks: 8
; VGPRBlocks: 7
; NumSGPRsForWavesPerEU: 68
; NumVGPRsForWavesPerEU: 64
; AccumOffset: 64
; Occupancy: 8
; WaveLimiterHint : 0
; COMPUTE_PGM_RSRC2:SCRATCH_EN: 0
; COMPUTE_PGM_RSRC2:USER_SGPR: 2
; COMPUTE_PGM_RSRC2:TRAP_HANDLER: 0
; COMPUTE_PGM_RSRC2:TGID_X_EN: 1
; COMPUTE_PGM_RSRC2:TGID_Y_EN: 0
; COMPUTE_PGM_RSRC2:TGID_Z_EN: 0
; COMPUTE_PGM_RSRC2:TIDIG_COMP_CNT: 0
; COMPUTE_PGM_RSRC3_GFX90A:ACCUM_OFFSET: 15
; COMPUTE_PGM_RSRC3_GFX90A:TG_SPLIT: 0
	.section	.text._Z6kernelI9histogramILN6hipcub23BlockHistogramAlgorithmE0EEyLj320ELj4ELj320ELj100EEvPKT0_PS4_,"axG",@progbits,_Z6kernelI9histogramILN6hipcub23BlockHistogramAlgorithmE0EEyLj320ELj4ELj320ELj100EEvPKT0_PS4_,comdat
	.protected	_Z6kernelI9histogramILN6hipcub23BlockHistogramAlgorithmE0EEyLj320ELj4ELj320ELj100EEvPKT0_PS4_ ; -- Begin function _Z6kernelI9histogramILN6hipcub23BlockHistogramAlgorithmE0EEyLj320ELj4ELj320ELj100EEvPKT0_PS4_
	.globl	_Z6kernelI9histogramILN6hipcub23BlockHistogramAlgorithmE0EEyLj320ELj4ELj320ELj100EEvPKT0_PS4_
	.p2align	8
	.type	_Z6kernelI9histogramILN6hipcub23BlockHistogramAlgorithmE0EEyLj320ELj4ELj320ELj100EEvPKT0_PS4_,@function
_Z6kernelI9histogramILN6hipcub23BlockHistogramAlgorithmE0EEyLj320ELj4ELj320ELj100EEvPKT0_PS4_: ; @_Z6kernelI9histogramILN6hipcub23BlockHistogramAlgorithmE0EEyLj320ELj4ELj320ELj100EEvPKT0_PS4_
; %bb.0:
	s_load_dwordx4 s[76:79], s[0:1], 0x0
	s_mulk_i32 s2, 0x140
	v_add_u32_e32 v10, s2, v0
	v_mov_b32_e32 v12, 0
	v_lshlrev_b32_e32 v4, 2, v10
	s_waitcnt lgkmcnt(0)
	v_mov_b32_e32 v2, s76
	v_mov_b32_e32 v3, s77
	;; [unrolled: 1-line block ×3, first 2 shown]
	v_lshl_add_u64 v[14:15], v[4:5], 3, v[2:3]
	global_load_dwordx4 v[6:9], v[14:15], off
	global_load_dwordx4 v[2:5], v[14:15], off offset:16
	s_movk_i32 s0, 0x140
	v_mov_b32_e32 v17, v12
	v_mov_b32_e32 v19, v12
	v_cmp_gt_u32_e32 vcc, s0, v0
	v_mov_b32_e32 v39, v12
	s_waitcnt vmcnt(1)
	v_mov_b32_e32 v9, v12
	v_lshlrev_b32_e32 v78, 3, v0
	s_movk_i32 s33, 0x64
	v_lshlrev_b32_e32 v13, 30, v6
	v_and_b32_e32 v16, 1, v6
	v_and_b32_e32 v18, 1, v8
	v_cmp_gt_i64_e64 s[2:3], 0, v[12:13]
	v_not_b32_e32 v1, v13
	v_lshlrev_b32_e32 v13, 29, v6
	v_lshl_add_u64 v[14:15], v[16:17], 0, -1
	v_cmp_eq_u32_e64 s[0:1], 1, v16
	v_lshl_add_u64 v[16:17], v[18:19], 0, -1
	v_cmp_eq_u32_e64 s[4:5], 1, v18
	v_ashrrev_i32_e32 v18, 31, v1
	v_cmp_gt_i64_e64 s[6:7], 0, v[12:13]
	v_not_b32_e32 v1, v13
	v_lshlrev_b32_e32 v13, 28, v6
	v_ashrrev_i32_e32 v20, 31, v1
	v_cmp_gt_i64_e64 s[8:9], 0, v[12:13]
	v_not_b32_e32 v1, v13
	v_lshlrev_b32_e32 v13, 27, v6
	;; [unrolled: 4-line block ×10, first 2 shown]
	v_cmp_gt_i64_e64 s[26:27], 0, v[12:13]
	s_waitcnt vmcnt(0)
	v_not_b32_e32 v3, v13
	v_lshlrev_b32_e32 v13, 26, v8
	v_cmp_gt_i64_e64 s[28:29], 0, v[12:13]
	v_not_b32_e32 v5, v13
	v_lshlrev_b32_e32 v13, 25, v8
	v_cmp_gt_i64_e64 s[30:31], 0, v[12:13]
	v_not_b32_e32 v11, v13
	v_lshlrev_b32_e32 v13, 24, v8
	v_cmp_gt_i64_e64 s[34:35], 0, v[12:13]
	v_not_b32_e32 v19, v13
	v_lshlrev_b32_e32 v13, 23, v8
	v_cmp_gt_i64_e64 s[36:37], 0, v[12:13]
	v_not_b32_e32 v21, v13
	v_lshlrev_b32_e32 v13, 30, v2
	v_cmp_gt_i64_e64 s[38:39], 0, v[12:13]
	v_not_b32_e32 v23, v13
	v_lshlrev_b32_e32 v13, 29, v2
	v_cmp_gt_i64_e64 s[40:41], 0, v[12:13]
	v_not_b32_e32 v25, v13
	v_lshlrev_b32_e32 v13, 28, v2
	v_cmp_gt_i64_e64 s[42:43], 0, v[12:13]
	v_not_b32_e32 v27, v13
	v_lshlrev_b32_e32 v13, 27, v2
	v_cmp_gt_i64_e64 s[44:45], 0, v[12:13]
	v_not_b32_e32 v29, v13
	v_lshlrev_b32_e32 v13, 26, v2
	v_cmp_gt_i64_e64 s[46:47], 0, v[12:13]
	v_not_b32_e32 v31, v13
	v_lshlrev_b32_e32 v13, 25, v2
	v_cmp_gt_i64_e64 s[48:49], 0, v[12:13]
	v_not_b32_e32 v33, v13
	v_lshlrev_b32_e32 v13, 24, v2
	v_cmp_gt_i64_e64 s[50:51], 0, v[12:13]
	v_not_b32_e32 v35, v13
	v_lshlrev_b32_e32 v13, 23, v2
	v_cmp_gt_i64_e64 s[52:53], 0, v[12:13]
	v_not_b32_e32 v37, v13
	v_lshlrev_b32_e32 v13, 30, v4
	v_cmp_gt_i64_e64 s[54:55], 0, v[12:13]
	v_not_b32_e32 v41, v13
	v_lshlrev_b32_e32 v13, 29, v4
	v_cmp_gt_i64_e64 s[56:57], 0, v[12:13]
	v_not_b32_e32 v43, v13
	v_lshlrev_b32_e32 v13, 28, v4
	v_cmp_gt_i64_e64 s[58:59], 0, v[12:13]
	v_not_b32_e32 v45, v13
	v_lshlrev_b32_e32 v13, 27, v4
	v_cmp_gt_i64_e64 s[60:61], 0, v[12:13]
	v_not_b32_e32 v47, v13
	v_lshlrev_b32_e32 v13, 26, v4
	v_cmp_gt_i64_e64 s[62:63], 0, v[12:13]
	v_not_b32_e32 v49, v13
	v_lshlrev_b32_e32 v13, 25, v4
	v_cmp_gt_i64_e64 s[64:65], 0, v[12:13]
	v_not_b32_e32 v51, v13
	v_lshlrev_b32_e32 v13, 24, v4
	v_cmp_gt_i64_e64 s[66:67], 0, v[12:13]
	v_not_b32_e32 v53, v13
	v_lshlrev_b32_e32 v13, 23, v4
	v_and_b32_e32 v38, 1, v2
	v_lshlrev_b32_e32 v79, 3, v2
	v_ashrrev_i32_e32 v2, 31, v1
	v_not_b32_e32 v1, v13
	v_lshlrev_b32_e32 v75, 3, v6
	v_lshlrev_b32_e32 v77, 3, v8
	v_lshlrev_b32_e32 v80, 3, v4
	v_and_b32_e32 v8, 1, v4
	v_ashrrev_i32_e32 v4, 31, v3
	v_cmp_eq_u32_e64 s[68:69], 1, v38
	v_lshl_add_u64 v[6:7], v[38:39], 0, -1
	v_ashrrev_i32_e32 v38, 31, v5
	v_ashrrev_i32_e32 v40, 31, v11
	v_ashrrev_i32_e32 v0, 31, v19
	v_ashrrev_i32_e32 v42, 31, v21
	v_ashrrev_i32_e32 v44, 31, v23
	v_ashrrev_i32_e32 v46, 31, v25
	v_ashrrev_i32_e32 v48, 31, v27
	v_ashrrev_i32_e32 v50, 31, v29
	v_ashrrev_i32_e32 v52, 31, v31
	v_ashrrev_i32_e32 v54, 31, v33
	v_ashrrev_i32_e32 v56, 31, v35
	v_ashrrev_i32_e32 v58, 31, v37
	v_ashrrev_i32_e32 v60, 31, v41
	v_ashrrev_i32_e32 v62, 31, v43
	v_ashrrev_i32_e32 v64, 31, v45
	v_ashrrev_i32_e32 v66, 31, v47
	v_ashrrev_i32_e32 v68, 31, v49
	v_ashrrev_i32_e32 v70, 31, v51
	v_ashrrev_i32_e32 v72, 31, v53
	v_ashrrev_i32_e32 v74, 31, v1
	v_cmp_eq_u32_e64 s[70:71], 1, v8
	v_lshl_add_u64 v[8:9], v[8:9], 0, -1
	v_cmp_gt_i64_e64 s[72:73], 0, v[12:13]
	v_mov_b32_e32 v1, v18
	v_mov_b32_e32 v3, v20
	;; [unrolled: 1-line block ×32, first 2 shown]
	s_branch .LBB27_2
.LBB27_1:                               ;   in Loop: Header=BB27_2 Depth=1
	s_or_b64 exec, exec, s[76:77]
	s_add_i32 s33, s33, -1
	s_cmp_lg_u32 s33, 0
	s_waitcnt lgkmcnt(0)
	s_barrier
	s_cbranch_scc0 .LBB27_12
.LBB27_2:                               ; =>This Inner Loop Header: Depth=1
	s_and_saveexec_b64 s[74:75], vcc
	s_cbranch_execz .LBB27_4
; %bb.3:                                ;   in Loop: Header=BB27_2 Depth=1
	v_mov_b32_e32 v13, v12
	ds_write_b64 v78, v[12:13]
.LBB27_4:                               ;   in Loop: Header=BB27_2 Depth=1
	s_or_b64 exec, exec, s[74:75]
	v_cndmask_b32_e64 v13, 0, 1, s[0:1]
	v_cmp_ne_u32_e64 s[74:75], 0, v13
	v_cndmask_b32_e64 v81, 0, 1, s[2:3]
	s_waitcnt lgkmcnt(0)
	v_xor_b32_e32 v13, s75, v15
	v_xor_b32_e32 v76, s74, v14
	v_cmp_ne_u32_e64 s[74:75], 0, v81
	v_and_b32_e32 v13, exec_hi, v13
	v_and_b32_e32 v76, exec_lo, v76
	v_xor_b32_e32 v81, s75, v1
	v_and_b32_e32 v13, v13, v81
	v_cndmask_b32_e64 v81, 0, 1, s[6:7]
	v_xor_b32_e32 v82, s74, v18
	v_cmp_ne_u32_e64 s[74:75], 0, v81
	v_and_b32_e32 v76, v76, v82
	s_barrier
	v_xor_b32_e32 v81, s75, v3
	v_and_b32_e32 v13, v13, v81
	v_cndmask_b32_e64 v81, 0, 1, s[8:9]
	v_xor_b32_e32 v82, s74, v20
	v_cmp_ne_u32_e64 s[74:75], 0, v81
	v_and_b32_e32 v76, v76, v82
	s_nop 0
	v_xor_b32_e32 v81, s75, v5
	v_and_b32_e32 v13, v13, v81
	v_cndmask_b32_e64 v81, 0, 1, s[10:11]
	v_xor_b32_e32 v82, s74, v22
	v_cmp_ne_u32_e64 s[74:75], 0, v81
	v_and_b32_e32 v76, v76, v82
	s_nop 0
	;; [unrolled: 7-line block ×6, first 2 shown]
	v_xor_b32_e32 v82, s74, v32
	v_xor_b32_e32 v81, s75, v25
	v_and_b32_e32 v76, v76, v82
	v_and_b32_e32 v13, v13, v81
	v_mbcnt_lo_u32_b32 v81, v76, 0
	v_mbcnt_hi_u32_b32 v81, v13, v81
	v_cmp_eq_u32_e64 s[74:75], 0, v81
	s_and_saveexec_b64 s[76:77], s[74:75]
	s_cbranch_execz .LBB27_6
; %bb.5:                                ;   in Loop: Header=BB27_2 Depth=1
	v_bcnt_u32_b32 v76, v76, 0
	v_bcnt_u32_b32 v82, v13, v76
	v_mov_b32_e32 v83, v12
	ds_add_u64 v75, v[82:83]
.LBB27_6:                               ;   in Loop: Header=BB27_2 Depth=1
	s_or_b64 exec, exec, s[76:77]
	v_cndmask_b32_e64 v13, 0, 1, s[4:5]
	v_cmp_ne_u32_e64 s[74:75], 0, v13
	v_cndmask_b32_e64 v81, 0, 1, s[20:21]
	s_nop 0
	v_xor_b32_e32 v13, s75, v17
	v_xor_b32_e32 v76, s74, v16
	v_cmp_ne_u32_e64 s[74:75], 0, v81
	v_and_b32_e32 v13, exec_hi, v13
	v_and_b32_e32 v76, exec_lo, v76
	v_xor_b32_e32 v81, s75, v27
	v_and_b32_e32 v13, v13, v81
	v_cndmask_b32_e64 v81, 0, 1, s[22:23]
	v_xor_b32_e32 v82, s74, v34
	v_cmp_ne_u32_e64 s[74:75], 0, v81
	v_and_b32_e32 v76, v76, v82
	s_nop 0
	v_xor_b32_e32 v81, s75, v29
	v_and_b32_e32 v13, v13, v81
	v_cndmask_b32_e64 v81, 0, 1, s[24:25]
	v_xor_b32_e32 v82, s74, v36
	v_cmp_ne_u32_e64 s[74:75], 0, v81
	v_and_b32_e32 v76, v76, v82
	s_nop 0
	;; [unrolled: 7-line block ×7, first 2 shown]
	v_xor_b32_e32 v82, s74, v42
	v_xor_b32_e32 v81, s75, v41
	v_and_b32_e32 v76, v76, v82
	v_and_b32_e32 v13, v13, v81
	v_mbcnt_lo_u32_b32 v81, v76, 0
	v_mbcnt_hi_u32_b32 v81, v13, v81
	v_cmp_eq_u32_e64 s[74:75], 0, v81
	s_and_saveexec_b64 s[76:77], s[74:75]
	s_cbranch_execz .LBB27_8
; %bb.7:                                ;   in Loop: Header=BB27_2 Depth=1
	v_bcnt_u32_b32 v76, v76, 0
	v_bcnt_u32_b32 v82, v13, v76
	v_mov_b32_e32 v83, v12
	ds_add_u64 v77, v[82:83]
.LBB27_8:                               ;   in Loop: Header=BB27_2 Depth=1
	s_or_b64 exec, exec, s[76:77]
	v_cndmask_b32_e64 v13, 0, 1, s[68:69]
	v_cmp_ne_u32_e64 s[74:75], 0, v13
	v_cndmask_b32_e64 v81, 0, 1, s[38:39]
	s_nop 0
	v_xor_b32_e32 v13, s75, v7
	v_xor_b32_e32 v76, s74, v6
	v_cmp_ne_u32_e64 s[74:75], 0, v81
	v_and_b32_e32 v13, exec_hi, v13
	v_and_b32_e32 v76, exec_lo, v76
	v_xor_b32_e32 v81, s75, v43
	v_and_b32_e32 v13, v13, v81
	v_cndmask_b32_e64 v81, 0, 1, s[40:41]
	v_xor_b32_e32 v82, s74, v44
	v_cmp_ne_u32_e64 s[74:75], 0, v81
	v_and_b32_e32 v76, v76, v82
	s_nop 0
	v_xor_b32_e32 v81, s75, v45
	v_and_b32_e32 v13, v13, v81
	v_cndmask_b32_e64 v81, 0, 1, s[42:43]
	v_xor_b32_e32 v82, s74, v46
	v_cmp_ne_u32_e64 s[74:75], 0, v81
	v_and_b32_e32 v76, v76, v82
	s_nop 0
	;; [unrolled: 7-line block ×7, first 2 shown]
	v_xor_b32_e32 v82, s74, v58
	v_xor_b32_e32 v81, s75, v57
	v_and_b32_e32 v76, v76, v82
	v_and_b32_e32 v13, v13, v81
	v_mbcnt_lo_u32_b32 v81, v76, 0
	v_mbcnt_hi_u32_b32 v81, v13, v81
	v_cmp_eq_u32_e64 s[74:75], 0, v81
	s_and_saveexec_b64 s[76:77], s[74:75]
	s_cbranch_execz .LBB27_10
; %bb.9:                                ;   in Loop: Header=BB27_2 Depth=1
	v_bcnt_u32_b32 v76, v76, 0
	v_bcnt_u32_b32 v82, v13, v76
	v_mov_b32_e32 v83, v12
	ds_add_u64 v79, v[82:83]
.LBB27_10:                              ;   in Loop: Header=BB27_2 Depth=1
	s_or_b64 exec, exec, s[76:77]
	v_cndmask_b32_e64 v13, 0, 1, s[70:71]
	v_cmp_ne_u32_e64 s[74:75], 0, v13
	v_cndmask_b32_e64 v81, 0, 1, s[54:55]
	s_nop 0
	v_xor_b32_e32 v13, s75, v9
	v_xor_b32_e32 v76, s74, v8
	v_cmp_ne_u32_e64 s[74:75], 0, v81
	v_and_b32_e32 v13, exec_hi, v13
	v_and_b32_e32 v76, exec_lo, v76
	v_xor_b32_e32 v81, s75, v59
	v_and_b32_e32 v13, v13, v81
	v_cndmask_b32_e64 v81, 0, 1, s[56:57]
	v_xor_b32_e32 v82, s74, v60
	v_cmp_ne_u32_e64 s[74:75], 0, v81
	v_and_b32_e32 v76, v76, v82
	s_nop 0
	v_xor_b32_e32 v81, s75, v61
	v_and_b32_e32 v13, v13, v81
	v_cndmask_b32_e64 v81, 0, 1, s[58:59]
	v_xor_b32_e32 v82, s74, v62
	v_cmp_ne_u32_e64 s[74:75], 0, v81
	v_and_b32_e32 v76, v76, v82
	s_nop 0
	;; [unrolled: 7-line block ×7, first 2 shown]
	v_xor_b32_e32 v82, s74, v74
	v_xor_b32_e32 v81, s75, v73
	v_and_b32_e32 v76, v76, v82
	v_and_b32_e32 v13, v13, v81
	v_mbcnt_lo_u32_b32 v81, v76, 0
	v_mbcnt_hi_u32_b32 v81, v13, v81
	v_cmp_eq_u32_e64 s[74:75], 0, v81
	s_and_saveexec_b64 s[76:77], s[74:75]
	s_cbranch_execz .LBB27_1
; %bb.11:                               ;   in Loop: Header=BB27_2 Depth=1
	v_bcnt_u32_b32 v76, v76, 0
	v_bcnt_u32_b32 v82, v13, v76
	v_mov_b32_e32 v83, v12
	ds_add_u64 v80, v[82:83]
	s_branch .LBB27_1
.LBB27_12:
	s_and_saveexec_b64 s[0:1], vcc
	s_cbranch_execz .LBB27_14
; %bb.13:
	ds_read_b64 v[0:1], v78
	v_mov_b32_e32 v2, s78
	v_mov_b32_e32 v3, s79
	v_mov_b32_e32 v11, 0
	v_lshl_add_u64 v[2:3], v[10:11], 3, v[2:3]
	s_waitcnt lgkmcnt(0)
	global_store_dwordx2 v[2:3], v[0:1], off
.LBB27_14:
	s_endpgm
	.section	.rodata,"a",@progbits
	.p2align	6, 0x0
	.amdhsa_kernel _Z6kernelI9histogramILN6hipcub23BlockHistogramAlgorithmE0EEyLj320ELj4ELj320ELj100EEvPKT0_PS4_
		.amdhsa_group_segment_fixed_size 2560
		.amdhsa_private_segment_fixed_size 0
		.amdhsa_kernarg_size 16
		.amdhsa_user_sgpr_count 2
		.amdhsa_user_sgpr_dispatch_ptr 0
		.amdhsa_user_sgpr_queue_ptr 0
		.amdhsa_user_sgpr_kernarg_segment_ptr 1
		.amdhsa_user_sgpr_dispatch_id 0
		.amdhsa_user_sgpr_kernarg_preload_length 0
		.amdhsa_user_sgpr_kernarg_preload_offset 0
		.amdhsa_user_sgpr_private_segment_size 0
		.amdhsa_uses_dynamic_stack 0
		.amdhsa_enable_private_segment 0
		.amdhsa_system_sgpr_workgroup_id_x 1
		.amdhsa_system_sgpr_workgroup_id_y 0
		.amdhsa_system_sgpr_workgroup_id_z 0
		.amdhsa_system_sgpr_workgroup_info 0
		.amdhsa_system_vgpr_workitem_id 0
		.amdhsa_next_free_vgpr 84
		.amdhsa_next_free_sgpr 80
		.amdhsa_accum_offset 84
		.amdhsa_reserve_vcc 1
		.amdhsa_float_round_mode_32 0
		.amdhsa_float_round_mode_16_64 0
		.amdhsa_float_denorm_mode_32 3
		.amdhsa_float_denorm_mode_16_64 3
		.amdhsa_dx10_clamp 1
		.amdhsa_ieee_mode 1
		.amdhsa_fp16_overflow 0
		.amdhsa_tg_split 0
		.amdhsa_exception_fp_ieee_invalid_op 0
		.amdhsa_exception_fp_denorm_src 0
		.amdhsa_exception_fp_ieee_div_zero 0
		.amdhsa_exception_fp_ieee_overflow 0
		.amdhsa_exception_fp_ieee_underflow 0
		.amdhsa_exception_fp_ieee_inexact 0
		.amdhsa_exception_int_div_zero 0
	.end_amdhsa_kernel
	.section	.text._Z6kernelI9histogramILN6hipcub23BlockHistogramAlgorithmE0EEyLj320ELj4ELj320ELj100EEvPKT0_PS4_,"axG",@progbits,_Z6kernelI9histogramILN6hipcub23BlockHistogramAlgorithmE0EEyLj320ELj4ELj320ELj100EEvPKT0_PS4_,comdat
.Lfunc_end27:
	.size	_Z6kernelI9histogramILN6hipcub23BlockHistogramAlgorithmE0EEyLj320ELj4ELj320ELj100EEvPKT0_PS4_, .Lfunc_end27-_Z6kernelI9histogramILN6hipcub23BlockHistogramAlgorithmE0EEyLj320ELj4ELj320ELj100EEvPKT0_PS4_
                                        ; -- End function
	.section	.AMDGPU.csdata,"",@progbits
; Kernel info:
; codeLenInByte = 2608
; NumSgprs: 86
; NumVgprs: 84
; NumAgprs: 0
; TotalNumVgprs: 84
; ScratchSize: 0
; MemoryBound: 0
; FloatMode: 240
; IeeeMode: 1
; LDSByteSize: 2560 bytes/workgroup (compile time only)
; SGPRBlocks: 10
; VGPRBlocks: 10
; NumSGPRsForWavesPerEU: 86
; NumVGPRsForWavesPerEU: 84
; AccumOffset: 84
; Occupancy: 5
; WaveLimiterHint : 0
; COMPUTE_PGM_RSRC2:SCRATCH_EN: 0
; COMPUTE_PGM_RSRC2:USER_SGPR: 2
; COMPUTE_PGM_RSRC2:TRAP_HANDLER: 0
; COMPUTE_PGM_RSRC2:TGID_X_EN: 1
; COMPUTE_PGM_RSRC2:TGID_Y_EN: 0
; COMPUTE_PGM_RSRC2:TGID_Z_EN: 0
; COMPUTE_PGM_RSRC2:TIDIG_COMP_CNT: 0
; COMPUTE_PGM_RSRC3_GFX90A:ACCUM_OFFSET: 20
; COMPUTE_PGM_RSRC3_GFX90A:TG_SPLIT: 0
	.section	.text._Z6kernelI9histogramILN6hipcub23BlockHistogramAlgorithmE0EEyLj320ELj8ELj320ELj100EEvPKT0_PS4_,"axG",@progbits,_Z6kernelI9histogramILN6hipcub23BlockHistogramAlgorithmE0EEyLj320ELj8ELj320ELj100EEvPKT0_PS4_,comdat
	.protected	_Z6kernelI9histogramILN6hipcub23BlockHistogramAlgorithmE0EEyLj320ELj8ELj320ELj100EEvPKT0_PS4_ ; -- Begin function _Z6kernelI9histogramILN6hipcub23BlockHistogramAlgorithmE0EEyLj320ELj8ELj320ELj100EEvPKT0_PS4_
	.globl	_Z6kernelI9histogramILN6hipcub23BlockHistogramAlgorithmE0EEyLj320ELj8ELj320ELj100EEvPKT0_PS4_
	.p2align	8
	.type	_Z6kernelI9histogramILN6hipcub23BlockHistogramAlgorithmE0EEyLj320ELj8ELj320ELj100EEvPKT0_PS4_,@function
_Z6kernelI9histogramILN6hipcub23BlockHistogramAlgorithmE0EEyLj320ELj8ELj320ELj100EEvPKT0_PS4_: ; @_Z6kernelI9histogramILN6hipcub23BlockHistogramAlgorithmE0EEyLj320ELj8ELj320ELj100EEvPKT0_PS4_
; %bb.0:
	s_load_dwordx4 s[4:7], s[0:1], 0x0
	s_mulk_i32 s2, 0x140
                                        ; implicit-def: $vgpr161 : SGPR spill to VGPR lane
	v_add_u32_e32 v18, s2, v0
	v_mov_b32_e32 v20, 0
	v_lshlrev_b32_e32 v4, 3, v18
	s_waitcnt lgkmcnt(0)
	v_mov_b32_e32 v2, s4
	v_writelane_b32 v161, s4, 0
	v_mov_b32_e32 v5, v20
	v_mov_b32_e32 v155, v20
	;; [unrolled: 1-line block ×3, first 2 shown]
	v_lshl_add_u64 v[22:23], v[4:5], 3, v[2:3]
	global_load_dwordx4 v[10:13], v[22:23], off
	global_load_dwordx4 v[2:5], v[22:23], off offset:16
	global_load_dwordx4 v[6:9], v[22:23], off offset:32
	global_load_dwordx4 v[14:17], v[22:23], off offset:48
	v_writelane_b32 v161, s5, 1
	v_writelane_b32 v161, s6, 2
	;; [unrolled: 1-line block ×3, first 2 shown]
	v_mov_b32_e32 v159, v20
	v_mov_b32_e32 v157, v20
	;; [unrolled: 1-line block ×7, first 2 shown]
	s_movk_i32 s26, 0x140
	v_lshlrev_b32_e32 v133, 3, v0
	v_cmp_gt_u32_e64 s[36:37], s26, v0
	s_movk_i32 s33, 0x64
	s_waitcnt vmcnt(3)
	v_lshlrev_b32_e32 v21, 30, v10
	v_cmp_gt_i64_e64 s[0:1], 0, v[20:21]
	v_not_b32_e32 v1, v21
	v_lshlrev_b32_e32 v21, 29, v10
	v_writelane_b32 v161, s0, 4
	v_ashrrev_i32_e32 v22, 31, v1
	v_not_b32_e32 v1, v21
	v_writelane_b32 v161, s1, 5
	v_cmp_gt_i64_e64 s[0:1], 0, v[20:21]
	v_lshlrev_b32_e32 v21, 28, v10
	v_ashrrev_i32_e32 v24, 31, v1
	v_writelane_b32 v161, s0, 6
	v_not_b32_e32 v1, v21
	v_ashrrev_i32_e32 v26, 31, v1
	v_writelane_b32 v161, s1, 7
	v_cmp_gt_i64_e64 s[0:1], 0, v[20:21]
	v_lshlrev_b32_e32 v21, 27, v10
	v_not_b32_e32 v1, v21
	v_writelane_b32 v161, s0, 8
	v_ashrrev_i32_e32 v28, 31, v1
	v_lshlrev_b32_e32 v135, 3, v10
	v_writelane_b32 v161, s1, 9
	v_cmp_gt_i64_e64 s[0:1], 0, v[20:21]
	v_lshlrev_b32_e32 v21, 26, v10
	v_not_b32_e32 v1, v21
	v_writelane_b32 v161, s0, 10
	v_ashrrev_i32_e32 v30, 31, v1
	v_and_b32_e32 v154, 1, v10
	v_writelane_b32 v161, s1, 11
	v_cmp_gt_i64_e64 s[0:1], 0, v[20:21]
	v_lshlrev_b32_e32 v21, 25, v10
	s_waitcnt vmcnt(2)
	v_not_b32_e32 v3, v21
	v_writelane_b32 v161, s0, 12
	v_ashrrev_i32_e32 v32, 31, v3
	s_waitcnt vmcnt(0)
	v_lshlrev_b32_e32 v145, 3, v14
	v_writelane_b32 v161, s1, 13
	v_cmp_gt_i64_e64 s[0:1], 0, v[20:21]
	v_lshlrev_b32_e32 v21, 24, v10
	v_not_b32_e32 v5, v21
	v_writelane_b32 v161, s0, 14
	v_ashrrev_i32_e32 v34, 31, v5
	v_and_b32_e32 v164, 1, v14
	v_writelane_b32 v161, s1, 15
	v_cmp_gt_i64_e64 s[0:1], 0, v[20:21]
	v_lshlrev_b32_e32 v21, 23, v10
	v_not_b32_e32 v7, v21
	v_writelane_b32 v161, s0, 16
	v_ashrrev_i32_e32 v36, 31, v7
	v_lshlrev_b32_e32 v139, 3, v4
	v_writelane_b32 v161, s1, 17
	v_cmp_gt_i64_e64 s[0:1], 0, v[20:21]
	v_lshlrev_b32_e32 v21, 30, v12
	v_not_b32_e32 v9, v21
	v_writelane_b32 v161, s0, 18
	v_ashrrev_i32_e32 v10, 31, v9
	v_and_b32_e32 v156, 1, v2
	v_writelane_b32 v161, s1, 19
	v_cmp_gt_i64_e64 s[0:1], 0, v[20:21]
	v_lshlrev_b32_e32 v21, 29, v12
	v_not_b32_e32 v11, v21
	v_writelane_b32 v161, s0, 20
	v_ashrrev_i32_e32 v38, 31, v11
	v_and_b32_e32 v158, 1, v12
	;; [unrolled: 7-line block ×6, first 2 shown]
	v_writelane_b32 v161, s1, 29
	v_cmp_gt_i64_e64 s[0:1], 0, v[20:21]
	v_lshlrev_b32_e32 v21, 24, v12
	v_not_b32_e32 v23, v21
	v_writelane_b32 v161, s0, 30
	v_ashrrev_i32_e32 v48, 31, v23
	v_lshlrev_b32_e32 v137, 3, v2
	v_writelane_b32 v161, s1, 31
	v_cmp_gt_i64_e64 s[0:1], 0, v[20:21]
	v_lshlrev_b32_e32 v21, 23, v12
	v_not_b32_e32 v25, v21
	v_writelane_b32 v161, s0, 32
	v_ashrrev_i32_e32 v50, 31, v25
	v_lshlrev_b32_e32 v141, 3, v6
	;; [unrolled: 7-line block ×4, first 2 shown]
	v_writelane_b32 v161, s1, 37
	v_cmp_gt_i64_e64 s[0:1], 0, v[20:21]
	v_lshlrev_b32_e32 v21, 28, v2
	v_not_b32_e32 v31, v21
	v_writelane_b32 v161, s0, 38
	v_ashrrev_i32_e32 v56, 31, v31
	v_lshl_add_u64 v[146:147], v[158:159], 0, -1
	v_writelane_b32 v161, s1, 39
	v_cmp_gt_i64_e64 s[0:1], 0, v[20:21]
	v_lshlrev_b32_e32 v21, 27, v2
	v_not_b32_e32 v33, v21
	v_writelane_b32 v161, s0, 40
	v_ashrrev_i32_e32 v58, 31, v33
	v_lshl_add_u64 v[148:149], v[156:157], 0, -1
	;; [unrolled: 7-line block ×3, first 2 shown]
	v_writelane_b32 v161, s1, 43
	v_cmp_gt_i64_e64 s[0:1], 0, v[20:21]
	v_lshlrev_b32_e32 v21, 25, v2
	v_not_b32_e32 v37, v21
	v_writelane_b32 v161, s0, 44
	v_ashrrev_i32_e32 v62, 31, v37
	v_mov_b32_e32 v37, v52
	v_writelane_b32 v161, s1, 45
	v_cmp_gt_i64_e64 s[0:1], 0, v[20:21]
	v_lshlrev_b32_e32 v21, 24, v2
	v_not_b32_e32 v39, v21
	v_writelane_b32 v161, s0, 46
	v_ashrrev_i32_e32 v64, 31, v39
	v_mov_b32_e32 v39, v54
	;; [unrolled: 7-line block ×4, first 2 shown]
	v_writelane_b32 v161, s1, 51
	v_cmp_gt_i64_e64 s[0:1], 0, v[20:21]
	v_lshlrev_b32_e32 v21, 29, v4
	v_cmp_gt_i64_e64 s[50:51], 0, v[20:21]
	v_not_b32_e32 v45, v21
	v_lshlrev_b32_e32 v21, 28, v4
	v_cmp_gt_i64_e64 s[52:53], 0, v[20:21]
	v_not_b32_e32 v47, v21
	v_lshlrev_b32_e32 v21, 27, v4
	v_cmp_gt_i64_e64 s[54:55], 0, v[20:21]
	v_not_b32_e32 v49, v21
	v_lshlrev_b32_e32 v21, 26, v4
	v_cmp_gt_i64_e64 s[56:57], 0, v[20:21]
	v_not_b32_e32 v51, v21
	v_lshlrev_b32_e32 v21, 25, v4
	v_cmp_gt_i64_e64 s[58:59], 0, v[20:21]
	v_not_b32_e32 v53, v21
	v_lshlrev_b32_e32 v21, 24, v4
	v_cmp_gt_i64_e64 s[60:61], 0, v[20:21]
	v_not_b32_e32 v55, v21
	v_lshlrev_b32_e32 v21, 23, v4
	v_cmp_gt_i64_e64 s[62:63], 0, v[20:21]
	v_not_b32_e32 v57, v21
	v_lshlrev_b32_e32 v21, 30, v6
	v_cmp_gt_i64_e64 s[64:65], 0, v[20:21]
	v_not_b32_e32 v59, v21
	v_lshlrev_b32_e32 v21, 29, v6
	v_cmp_gt_i64_e64 s[66:67], 0, v[20:21]
	v_not_b32_e32 v61, v21
	v_lshlrev_b32_e32 v21, 28, v6
	v_cmp_gt_i64_e64 s[68:69], 0, v[20:21]
	v_not_b32_e32 v63, v21
	v_lshlrev_b32_e32 v21, 27, v6
	v_cmp_gt_i64_e64 s[70:71], 0, v[20:21]
	v_not_b32_e32 v65, v21
	v_lshlrev_b32_e32 v21, 26, v6
	v_not_b32_e32 v1, v21
	v_cmp_gt_i64_e64 s[72:73], 0, v[20:21]
	v_lshlrev_b32_e32 v21, 25, v6
	v_not_b32_e32 v3, v21
	v_cmp_gt_i64_e64 s[74:75], 0, v[20:21]
	;; [unrolled: 3-line block ×13, first 2 shown]
	v_lshlrev_b32_e32 v21, 29, v14
	v_writelane_b32 v161, s0, 52
	v_not_b32_e32 v11, v21
	v_cmp_gt_i64_e64 s[98:99], 0, v[20:21]
	v_lshlrev_b32_e32 v21, 28, v14
	v_writelane_b32 v161, s1, 53
	v_not_b32_e32 v13, v21
	v_cmp_gt_i64_e64 s[0:1], 0, v[20:21]
	v_lshlrev_b32_e32 v21, 27, v14
	v_not_b32_e32 v15, v21
	v_cmp_gt_i64_e64 s[2:3], 0, v[20:21]
	v_lshlrev_b32_e32 v21, 26, v14
	;; [unrolled: 3-line block ×13, first 2 shown]
	v_not_b32_e32 v14, v21
	v_ashrrev_i32_e32 v70, 31, v45
	v_ashrrev_i32_e32 v72, 31, v47
	;; [unrolled: 1-line block ×39, first 2 shown]
	v_lshl_add_u64 v[2:3], v[154:155], 0, -1
	v_mov_b32_e32 v1, v22
	v_mov_b32_e32 v5, v24
	;; [unrolled: 1-line block ×16, first 2 shown]
	v_lshlrev_b32_e32 v6, 3, v12
	v_mov_b32_e32 v45, v60
	v_mov_b32_e32 v47, v62
	v_mov_b32_e32 v49, v64
	v_mov_b32_e32 v51, v66
	v_mov_b32_e32 v53, v68
	v_mov_b32_e32 v55, v70
	v_mov_b32_e32 v57, v72
	v_mov_b32_e32 v59, v74
	v_mov_b32_e32 v61, v76
	v_mov_b32_e32 v63, v78
	v_mov_b32_e32 v65, v80
	v_mov_b32_e32 v67, v82
	v_lshl_add_u64 v[152:153], v[162:163], 0, -1
	v_mov_b32_e32 v69, v84
	v_mov_b32_e32 v71, v86
	;; [unrolled: 1-line block ×3, first 2 shown]
	v_cmp_eq_u32_e64 s[26:27], 1, v154
	v_mov_b32_e32 v75, v90
	v_cmp_eq_u32_e64 s[28:29], 1, v158
	v_lshl_add_u64 v[154:155], v[168:169], 0, -1
	v_cmp_eq_u32_e64 s[30:31], 1, v156
	v_lshl_add_u64 v[156:157], v[164:165], 0, -1
	;; [unrolled: 2-line block ×3, first 2 shown]
	v_cmp_eq_u32_e64 s[38:39], 1, v162
	v_mov_b32_e32 v77, v92
	v_cmp_eq_u32_e64 s[40:41], 1, v168
	v_mov_b32_e32 v79, v94
	;; [unrolled: 2-line block ×3, first 2 shown]
	v_cmp_eq_u32_e64 s[44:45], 1, v170
	v_cmp_gt_i64_e64 s[46:47], 0, v[20:21]
	v_mov_b32_e32 v83, v98
	v_mov_b32_e32 v85, v100
	;; [unrolled: 1-line block ×25, first 2 shown]
	s_branch .LBB28_2
.LBB28_1:                               ;   in Loop: Header=BB28_2 Depth=1
	s_or_b64 exec, exec, s[48:49]
	s_add_i32 s33, s33, -1
	s_cmp_lg_u32 s33, 0
	s_waitcnt lgkmcnt(0)
	s_barrier
	s_cbranch_scc0 .LBB28_20
.LBB28_2:                               ; =>This Inner Loop Header: Depth=1
	s_and_saveexec_b64 s[48:49], s[36:37]
	s_cbranch_execz .LBB28_4
; %bb.3:                                ;   in Loop: Header=BB28_2 Depth=1
	v_mov_b32_e32 v21, v20
	ds_write_b64 v133, v[20:21]
.LBB28_4:                               ;   in Loop: Header=BB28_2 Depth=1
	s_or_b64 exec, exec, s[48:49]
	v_readlane_b32 s48, v161, 4
	v_cndmask_b32_e64 v0, 0, 1, s[26:27]
	v_readlane_b32 s49, v161, 5
	v_cmp_ne_u32_e32 vcc, 0, v0
	s_waitcnt lgkmcnt(0)
	v_cndmask_b32_e64 v12, 0, 1, s[48:49]
	v_xor_b32_e32 v0, vcc_hi, v3
	v_xor_b32_e32 v8, vcc_lo, v2
	v_cmp_ne_u32_e32 vcc, 0, v12
	v_readlane_b32 s48, v161, 6
	v_and_b32_e32 v0, exec_hi, v0
	v_xor_b32_e32 v12, vcc_hi, v1
	v_readlane_b32 s49, v161, 7
	v_and_b32_e32 v0, v0, v12
	v_xor_b32_e32 v14, vcc_lo, v22
	v_cndmask_b32_e64 v12, 0, 1, s[48:49]
	v_cmp_ne_u32_e32 vcc, 0, v12
	v_readlane_b32 s48, v161, 8
	v_readlane_b32 s49, v161, 9
	v_xor_b32_e32 v12, vcc_hi, v5
	v_and_b32_e32 v8, exec_lo, v8
	v_and_b32_e32 v0, v0, v12
	v_cndmask_b32_e64 v12, 0, 1, s[48:49]
	v_and_b32_e32 v8, v8, v14
	v_xor_b32_e32 v14, vcc_lo, v24
	v_cmp_ne_u32_e32 vcc, 0, v12
	v_readlane_b32 s48, v161, 10
	v_readlane_b32 s49, v161, 11
	v_xor_b32_e32 v12, vcc_hi, v7
	v_and_b32_e32 v0, v0, v12
	v_cndmask_b32_e64 v12, 0, 1, s[48:49]
	v_and_b32_e32 v8, v8, v14
	v_xor_b32_e32 v14, vcc_lo, v26
	v_cmp_ne_u32_e32 vcc, 0, v12
	v_readlane_b32 s48, v161, 12
	v_readlane_b32 s49, v161, 13
	v_xor_b32_e32 v12, vcc_hi, v9
	;; [unrolled: 8-line block ×5, first 2 shown]
	v_and_b32_e32 v0, v0, v12
	v_cndmask_b32_e64 v12, 0, 1, s[48:49]
	v_and_b32_e32 v8, v8, v14
	v_xor_b32_e32 v14, vcc_lo, v34
	v_cmp_ne_u32_e32 vcc, 0, v12
	v_and_b32_e32 v8, v8, v14
	s_barrier
	v_xor_b32_e32 v12, vcc_hi, v17
	v_xor_b32_e32 v14, vcc_lo, v36
	v_and_b32_e32 v21, v0, v12
	v_and_b32_e32 v0, v8, v14
	v_mbcnt_lo_u32_b32 v8, v0, 0
	v_mbcnt_hi_u32_b32 v8, v21, v8
	v_cmp_eq_u32_e32 vcc, 0, v8
	s_and_saveexec_b64 s[48:49], vcc
	s_cbranch_execz .LBB28_6
; %bb.5:                                ;   in Loop: Header=BB28_2 Depth=1
	v_bcnt_u32_b32 v0, v0, 0
	v_bcnt_u32_b32 v162, v21, v0
	v_mov_b32_e32 v163, v20
	ds_add_u64 v135, v[162:163]
.LBB28_6:                               ;   in Loop: Header=BB28_2 Depth=1
	s_or_b64 exec, exec, s[48:49]
	v_readlane_b32 s48, v161, 20
	v_cndmask_b32_e64 v0, 0, 1, s[28:29]
	v_readlane_b32 s49, v161, 21
	v_cmp_ne_u32_e32 vcc, 0, v0
	s_nop 0
	v_cndmask_b32_e64 v12, 0, 1, s[48:49]
	v_xor_b32_e32 v0, vcc_hi, v147
	v_xor_b32_e32 v8, vcc_lo, v146
	v_cmp_ne_u32_e32 vcc, 0, v12
	v_readlane_b32 s48, v161, 22
	v_and_b32_e32 v0, exec_hi, v0
	v_xor_b32_e32 v12, vcc_hi, v19
	v_readlane_b32 s49, v161, 23
	v_and_b32_e32 v0, v0, v12
	v_xor_b32_e32 v14, vcc_lo, v10
	v_cndmask_b32_e64 v12, 0, 1, s[48:49]
	v_cmp_ne_u32_e32 vcc, 0, v12
	v_readlane_b32 s48, v161, 24
	v_readlane_b32 s49, v161, 25
	v_xor_b32_e32 v12, vcc_hi, v23
	v_and_b32_e32 v8, exec_lo, v8
	v_and_b32_e32 v0, v0, v12
	v_cndmask_b32_e64 v12, 0, 1, s[48:49]
	v_and_b32_e32 v8, v8, v14
	v_xor_b32_e32 v14, vcc_lo, v38
	v_cmp_ne_u32_e32 vcc, 0, v12
	v_readlane_b32 s48, v161, 26
	v_readlane_b32 s49, v161, 27
	v_xor_b32_e32 v12, vcc_hi, v25
	v_and_b32_e32 v0, v0, v12
	v_cndmask_b32_e64 v12, 0, 1, s[48:49]
	v_and_b32_e32 v8, v8, v14
	v_xor_b32_e32 v14, vcc_lo, v40
	v_cmp_ne_u32_e32 vcc, 0, v12
	v_readlane_b32 s48, v161, 28
	v_readlane_b32 s49, v161, 29
	v_xor_b32_e32 v12, vcc_hi, v27
	;; [unrolled: 8-line block ×5, first 2 shown]
	v_and_b32_e32 v0, v0, v12
	v_cndmask_b32_e64 v12, 0, 1, s[48:49]
	v_and_b32_e32 v8, v8, v14
	v_xor_b32_e32 v14, vcc_lo, v48
	v_cmp_ne_u32_e32 vcc, 0, v12
	v_and_b32_e32 v8, v8, v14
	s_nop 0
	v_xor_b32_e32 v12, vcc_hi, v35
	v_xor_b32_e32 v14, vcc_lo, v50
	v_and_b32_e32 v21, v0, v12
	v_and_b32_e32 v0, v8, v14
	v_mbcnt_lo_u32_b32 v8, v0, 0
	v_mbcnt_hi_u32_b32 v8, v21, v8
	v_cmp_eq_u32_e32 vcc, 0, v8
	s_and_saveexec_b64 s[48:49], vcc
	s_cbranch_execz .LBB28_8
; %bb.7:                                ;   in Loop: Header=BB28_2 Depth=1
	v_bcnt_u32_b32 v0, v0, 0
	v_bcnt_u32_b32 v162, v21, v0
	v_mov_b32_e32 v163, v20
	ds_add_u64 v6, v[162:163]
.LBB28_8:                               ;   in Loop: Header=BB28_2 Depth=1
	s_or_b64 exec, exec, s[48:49]
	v_readlane_b32 s48, v161, 36
	v_cndmask_b32_e64 v0, 0, 1, s[30:31]
	v_readlane_b32 s49, v161, 37
	v_cmp_ne_u32_e32 vcc, 0, v0
	s_nop 0
	v_cndmask_b32_e64 v12, 0, 1, s[48:49]
	v_xor_b32_e32 v0, vcc_hi, v149
	v_xor_b32_e32 v8, vcc_lo, v148
	v_cmp_ne_u32_e32 vcc, 0, v12
	v_readlane_b32 s48, v161, 38
	v_and_b32_e32 v0, exec_hi, v0
	v_xor_b32_e32 v12, vcc_hi, v37
	v_readlane_b32 s49, v161, 39
	v_and_b32_e32 v0, v0, v12
	v_xor_b32_e32 v14, vcc_lo, v52
	v_cndmask_b32_e64 v12, 0, 1, s[48:49]
	v_cmp_ne_u32_e32 vcc, 0, v12
	v_readlane_b32 s48, v161, 40
	v_readlane_b32 s49, v161, 41
	v_xor_b32_e32 v12, vcc_hi, v39
	v_and_b32_e32 v8, exec_lo, v8
	v_and_b32_e32 v0, v0, v12
	v_cndmask_b32_e64 v12, 0, 1, s[48:49]
	v_and_b32_e32 v8, v8, v14
	v_xor_b32_e32 v14, vcc_lo, v54
	v_cmp_ne_u32_e32 vcc, 0, v12
	v_readlane_b32 s48, v161, 42
	v_readlane_b32 s49, v161, 43
	v_xor_b32_e32 v12, vcc_hi, v41
	v_and_b32_e32 v0, v0, v12
	v_cndmask_b32_e64 v12, 0, 1, s[48:49]
	v_and_b32_e32 v8, v8, v14
	v_xor_b32_e32 v14, vcc_lo, v56
	v_cmp_ne_u32_e32 vcc, 0, v12
	v_readlane_b32 s48, v161, 44
	v_readlane_b32 s49, v161, 45
	v_xor_b32_e32 v12, vcc_hi, v43
	;; [unrolled: 8-line block ×5, first 2 shown]
	v_and_b32_e32 v0, v0, v12
	v_cndmask_b32_e64 v12, 0, 1, s[48:49]
	v_and_b32_e32 v8, v8, v14
	v_xor_b32_e32 v14, vcc_lo, v64
	v_cmp_ne_u32_e32 vcc, 0, v12
	v_and_b32_e32 v8, v8, v14
	s_nop 0
	v_xor_b32_e32 v12, vcc_hi, v51
	v_xor_b32_e32 v14, vcc_lo, v66
	v_and_b32_e32 v21, v0, v12
	v_and_b32_e32 v0, v8, v14
	v_mbcnt_lo_u32_b32 v8, v0, 0
	v_mbcnt_hi_u32_b32 v8, v21, v8
	v_cmp_eq_u32_e32 vcc, 0, v8
	s_and_saveexec_b64 s[48:49], vcc
	s_cbranch_execz .LBB28_10
; %bb.9:                                ;   in Loop: Header=BB28_2 Depth=1
	v_bcnt_u32_b32 v0, v0, 0
	v_bcnt_u32_b32 v162, v21, v0
	v_mov_b32_e32 v163, v20
	ds_add_u64 v137, v[162:163]
.LBB28_10:                              ;   in Loop: Header=BB28_2 Depth=1
	s_or_b64 exec, exec, s[48:49]
	v_readlane_b32 s48, v161, 52
	v_cndmask_b32_e64 v0, 0, 1, s[34:35]
	v_readlane_b32 s49, v161, 53
	v_cmp_ne_u32_e32 vcc, 0, v0
	s_nop 0
	v_cndmask_b32_e64 v12, 0, 1, s[48:49]
	v_xor_b32_e32 v0, vcc_hi, v151
	v_xor_b32_e32 v8, vcc_lo, v150
	v_cmp_ne_u32_e32 vcc, 0, v12
	v_and_b32_e32 v0, exec_hi, v0
	v_and_b32_e32 v8, exec_lo, v8
	v_xor_b32_e32 v12, vcc_hi, v53
	v_and_b32_e32 v0, v0, v12
	v_cndmask_b32_e64 v12, 0, 1, s[50:51]
	v_xor_b32_e32 v14, vcc_lo, v68
	v_cmp_ne_u32_e32 vcc, 0, v12
	v_and_b32_e32 v8, v8, v14
	s_nop 0
	v_xor_b32_e32 v12, vcc_hi, v55
	v_and_b32_e32 v0, v0, v12
	v_cndmask_b32_e64 v12, 0, 1, s[52:53]
	v_xor_b32_e32 v14, vcc_lo, v70
	v_cmp_ne_u32_e32 vcc, 0, v12
	v_and_b32_e32 v8, v8, v14
	s_nop 0
	;; [unrolled: 7-line block ×7, first 2 shown]
	v_xor_b32_e32 v12, vcc_hi, v67
	v_xor_b32_e32 v14, vcc_lo, v82
	v_and_b32_e32 v21, v0, v12
	v_and_b32_e32 v0, v8, v14
	v_mbcnt_lo_u32_b32 v8, v0, 0
	v_mbcnt_hi_u32_b32 v8, v21, v8
	v_cmp_eq_u32_e32 vcc, 0, v8
	s_and_saveexec_b64 s[48:49], vcc
	s_cbranch_execz .LBB28_12
; %bb.11:                               ;   in Loop: Header=BB28_2 Depth=1
	v_bcnt_u32_b32 v0, v0, 0
	v_bcnt_u32_b32 v162, v21, v0
	v_mov_b32_e32 v163, v20
	ds_add_u64 v139, v[162:163]
.LBB28_12:                              ;   in Loop: Header=BB28_2 Depth=1
	s_or_b64 exec, exec, s[48:49]
	v_cndmask_b32_e64 v0, 0, 1, s[38:39]
	v_cmp_ne_u32_e32 vcc, 0, v0
	v_cndmask_b32_e64 v12, 0, 1, s[64:65]
	s_nop 0
	v_xor_b32_e32 v0, vcc_hi, v153
	v_xor_b32_e32 v8, vcc_lo, v152
	v_cmp_ne_u32_e32 vcc, 0, v12
	v_and_b32_e32 v0, exec_hi, v0
	v_and_b32_e32 v8, exec_lo, v8
	v_xor_b32_e32 v12, vcc_hi, v69
	v_and_b32_e32 v0, v0, v12
	v_cndmask_b32_e64 v12, 0, 1, s[66:67]
	v_xor_b32_e32 v14, vcc_lo, v84
	v_cmp_ne_u32_e32 vcc, 0, v12
	v_and_b32_e32 v8, v8, v14
	s_nop 0
	v_xor_b32_e32 v12, vcc_hi, v71
	v_and_b32_e32 v0, v0, v12
	v_cndmask_b32_e64 v12, 0, 1, s[68:69]
	v_xor_b32_e32 v14, vcc_lo, v86
	v_cmp_ne_u32_e32 vcc, 0, v12
	v_and_b32_e32 v8, v8, v14
	s_nop 0
	;; [unrolled: 7-line block ×7, first 2 shown]
	v_xor_b32_e32 v12, vcc_hi, v83
	v_xor_b32_e32 v14, vcc_lo, v98
	v_and_b32_e32 v21, v0, v12
	v_and_b32_e32 v0, v8, v14
	v_mbcnt_lo_u32_b32 v8, v0, 0
	v_mbcnt_hi_u32_b32 v8, v21, v8
	v_cmp_eq_u32_e32 vcc, 0, v8
	s_and_saveexec_b64 s[48:49], vcc
	s_cbranch_execz .LBB28_14
; %bb.13:                               ;   in Loop: Header=BB28_2 Depth=1
	v_bcnt_u32_b32 v0, v0, 0
	v_bcnt_u32_b32 v162, v21, v0
	v_mov_b32_e32 v163, v20
	ds_add_u64 v141, v[162:163]
.LBB28_14:                              ;   in Loop: Header=BB28_2 Depth=1
	s_or_b64 exec, exec, s[48:49]
	v_cndmask_b32_e64 v0, 0, 1, s[40:41]
	v_cmp_ne_u32_e32 vcc, 0, v0
	v_cndmask_b32_e64 v12, 0, 1, s[80:81]
	s_nop 0
	v_xor_b32_e32 v0, vcc_hi, v155
	v_xor_b32_e32 v8, vcc_lo, v154
	v_cmp_ne_u32_e32 vcc, 0, v12
	v_and_b32_e32 v0, exec_hi, v0
	v_and_b32_e32 v8, exec_lo, v8
	v_xor_b32_e32 v12, vcc_hi, v85
	v_and_b32_e32 v0, v0, v12
	v_cndmask_b32_e64 v12, 0, 1, s[82:83]
	v_xor_b32_e32 v14, vcc_lo, v100
	v_cmp_ne_u32_e32 vcc, 0, v12
	v_and_b32_e32 v8, v8, v14
	s_nop 0
	v_xor_b32_e32 v12, vcc_hi, v87
	v_and_b32_e32 v0, v0, v12
	v_cndmask_b32_e64 v12, 0, 1, s[84:85]
	v_xor_b32_e32 v14, vcc_lo, v102
	v_cmp_ne_u32_e32 vcc, 0, v12
	v_and_b32_e32 v8, v8, v14
	s_nop 0
	;; [unrolled: 7-line block ×7, first 2 shown]
	v_xor_b32_e32 v12, vcc_hi, v99
	v_xor_b32_e32 v14, vcc_lo, v114
	v_and_b32_e32 v21, v0, v12
	v_and_b32_e32 v0, v8, v14
	v_mbcnt_lo_u32_b32 v8, v0, 0
	v_mbcnt_hi_u32_b32 v8, v21, v8
	v_cmp_eq_u32_e32 vcc, 0, v8
	s_and_saveexec_b64 s[48:49], vcc
	s_cbranch_execz .LBB28_16
; %bb.15:                               ;   in Loop: Header=BB28_2 Depth=1
	v_bcnt_u32_b32 v0, v0, 0
	v_bcnt_u32_b32 v162, v21, v0
	v_mov_b32_e32 v163, v20
	ds_add_u64 v143, v[162:163]
.LBB28_16:                              ;   in Loop: Header=BB28_2 Depth=1
	s_or_b64 exec, exec, s[48:49]
	v_cndmask_b32_e64 v0, 0, 1, s[42:43]
	v_cmp_ne_u32_e32 vcc, 0, v0
	v_cndmask_b32_e64 v12, 0, 1, s[96:97]
	s_nop 0
	v_xor_b32_e32 v0, vcc_hi, v157
	v_xor_b32_e32 v8, vcc_lo, v156
	v_cmp_ne_u32_e32 vcc, 0, v12
	v_and_b32_e32 v0, exec_hi, v0
	v_and_b32_e32 v8, exec_lo, v8
	v_xor_b32_e32 v12, vcc_hi, v101
	v_and_b32_e32 v0, v0, v12
	v_cndmask_b32_e64 v12, 0, 1, s[98:99]
	v_xor_b32_e32 v14, vcc_lo, v116
	v_cmp_ne_u32_e32 vcc, 0, v12
	v_and_b32_e32 v8, v8, v14
	s_nop 0
	v_xor_b32_e32 v12, vcc_hi, v103
	v_and_b32_e32 v0, v0, v12
	v_cndmask_b32_e64 v12, 0, 1, s[0:1]
	v_xor_b32_e32 v14, vcc_lo, v118
	v_cmp_ne_u32_e32 vcc, 0, v12
	v_and_b32_e32 v8, v8, v14
	s_nop 0
	;; [unrolled: 7-line block ×7, first 2 shown]
	v_xor_b32_e32 v12, vcc_hi, v115
	v_xor_b32_e32 v14, vcc_lo, v130
	v_and_b32_e32 v21, v0, v12
	v_and_b32_e32 v0, v8, v14
	v_mbcnt_lo_u32_b32 v8, v0, 0
	v_mbcnt_hi_u32_b32 v8, v21, v8
	v_cmp_eq_u32_e32 vcc, 0, v8
	s_and_saveexec_b64 s[48:49], vcc
	s_cbranch_execz .LBB28_18
; %bb.17:                               ;   in Loop: Header=BB28_2 Depth=1
	v_bcnt_u32_b32 v0, v0, 0
	v_bcnt_u32_b32 v162, v21, v0
	v_mov_b32_e32 v163, v20
	ds_add_u64 v145, v[162:163]
.LBB28_18:                              ;   in Loop: Header=BB28_2 Depth=1
	s_or_b64 exec, exec, s[48:49]
	v_cndmask_b32_e64 v0, 0, 1, s[44:45]
	v_cmp_ne_u32_e32 vcc, 0, v0
	v_cndmask_b32_e64 v12, 0, 1, s[12:13]
	s_nop 0
	v_xor_b32_e32 v0, vcc_hi, v159
	v_xor_b32_e32 v8, vcc_lo, v158
	v_cmp_ne_u32_e32 vcc, 0, v12
	v_and_b32_e32 v0, exec_hi, v0
	v_and_b32_e32 v8, exec_lo, v8
	v_xor_b32_e32 v12, vcc_hi, v117
	v_and_b32_e32 v0, v0, v12
	v_cndmask_b32_e64 v12, 0, 1, s[14:15]
	v_xor_b32_e32 v14, vcc_lo, v132
	v_cmp_ne_u32_e32 vcc, 0, v12
	v_and_b32_e32 v8, v8, v14
	s_nop 0
	v_xor_b32_e32 v12, vcc_hi, v119
	v_and_b32_e32 v0, v0, v12
	v_cndmask_b32_e64 v12, 0, 1, s[16:17]
	v_xor_b32_e32 v14, vcc_lo, v134
	v_cmp_ne_u32_e32 vcc, 0, v12
	v_and_b32_e32 v8, v8, v14
	s_nop 0
	;; [unrolled: 7-line block ×7, first 2 shown]
	v_xor_b32_e32 v12, vcc_hi, v131
	v_xor_b32_e32 v14, vcc_lo, v4
	v_and_b32_e32 v21, v0, v12
	v_and_b32_e32 v0, v8, v14
	v_mbcnt_lo_u32_b32 v8, v0, 0
	v_mbcnt_hi_u32_b32 v8, v21, v8
	v_cmp_eq_u32_e32 vcc, 0, v8
	s_and_saveexec_b64 s[48:49], vcc
	s_cbranch_execz .LBB28_1
; %bb.19:                               ;   in Loop: Header=BB28_2 Depth=1
	v_bcnt_u32_b32 v0, v0, 0
	v_bcnt_u32_b32 v162, v21, v0
	v_mov_b32_e32 v163, v20
	ds_add_u64 v160, v[162:163]
	s_branch .LBB28_1
.LBB28_20:
	s_and_saveexec_b64 s[0:1], s[36:37]
	s_cbranch_execz .LBB28_22
; %bb.21:
	ds_read_b64 v[0:1], v133
	v_readlane_b32 s0, v161, 0
	v_readlane_b32 s2, v161, 2
	;; [unrolled: 1-line block ×3, first 2 shown]
	v_mov_b32_e32 v19, 0
	v_mov_b32_e32 v2, s2
	;; [unrolled: 1-line block ×3, first 2 shown]
	v_lshl_add_u64 v[2:3], v[18:19], 3, v[2:3]
	v_readlane_b32 s1, v161, 1
	s_waitcnt lgkmcnt(0)
	global_store_dwordx2 v[2:3], v[0:1], off
.LBB28_22:
	s_endpgm
	.section	.rodata,"a",@progbits
	.p2align	6, 0x0
	.amdhsa_kernel _Z6kernelI9histogramILN6hipcub23BlockHistogramAlgorithmE0EEyLj320ELj8ELj320ELj100EEvPKT0_PS4_
		.amdhsa_group_segment_fixed_size 2560
		.amdhsa_private_segment_fixed_size 0
		.amdhsa_kernarg_size 16
		.amdhsa_user_sgpr_count 2
		.amdhsa_user_sgpr_dispatch_ptr 0
		.amdhsa_user_sgpr_queue_ptr 0
		.amdhsa_user_sgpr_kernarg_segment_ptr 1
		.amdhsa_user_sgpr_dispatch_id 0
		.amdhsa_user_sgpr_kernarg_preload_length 0
		.amdhsa_user_sgpr_kernarg_preload_offset 0
		.amdhsa_user_sgpr_private_segment_size 0
		.amdhsa_uses_dynamic_stack 0
		.amdhsa_enable_private_segment 0
		.amdhsa_system_sgpr_workgroup_id_x 1
		.amdhsa_system_sgpr_workgroup_id_y 0
		.amdhsa_system_sgpr_workgroup_id_z 0
		.amdhsa_system_sgpr_workgroup_info 0
		.amdhsa_system_vgpr_workitem_id 0
		.amdhsa_next_free_vgpr 172
		.amdhsa_next_free_sgpr 100
		.amdhsa_accum_offset 172
		.amdhsa_reserve_vcc 1
		.amdhsa_float_round_mode_32 0
		.amdhsa_float_round_mode_16_64 0
		.amdhsa_float_denorm_mode_32 3
		.amdhsa_float_denorm_mode_16_64 3
		.amdhsa_dx10_clamp 1
		.amdhsa_ieee_mode 1
		.amdhsa_fp16_overflow 0
		.amdhsa_tg_split 0
		.amdhsa_exception_fp_ieee_invalid_op 0
		.amdhsa_exception_fp_denorm_src 0
		.amdhsa_exception_fp_ieee_div_zero 0
		.amdhsa_exception_fp_ieee_overflow 0
		.amdhsa_exception_fp_ieee_underflow 0
		.amdhsa_exception_fp_ieee_inexact 0
		.amdhsa_exception_int_div_zero 0
	.end_amdhsa_kernel
	.section	.text._Z6kernelI9histogramILN6hipcub23BlockHistogramAlgorithmE0EEyLj320ELj8ELj320ELj100EEvPKT0_PS4_,"axG",@progbits,_Z6kernelI9histogramILN6hipcub23BlockHistogramAlgorithmE0EEyLj320ELj8ELj320ELj100EEvPKT0_PS4_,comdat
.Lfunc_end28:
	.size	_Z6kernelI9histogramILN6hipcub23BlockHistogramAlgorithmE0EEyLj320ELj8ELj320ELj100EEvPKT0_PS4_, .Lfunc_end28-_Z6kernelI9histogramILN6hipcub23BlockHistogramAlgorithmE0EEyLj320ELj8ELj320ELj100EEvPKT0_PS4_
                                        ; -- End function
	.section	.AMDGPU.csdata,"",@progbits
; Kernel info:
; codeLenInByte = 5520
; NumSgprs: 106
; NumVgprs: 172
; NumAgprs: 0
; TotalNumVgprs: 172
; ScratchSize: 0
; MemoryBound: 0
; FloatMode: 240
; IeeeMode: 1
; LDSByteSize: 2560 bytes/workgroup (compile time only)
; SGPRBlocks: 13
; VGPRBlocks: 21
; NumSGPRsForWavesPerEU: 106
; NumVGPRsForWavesPerEU: 172
; AccumOffset: 172
; Occupancy: 2
; WaveLimiterHint : 0
; COMPUTE_PGM_RSRC2:SCRATCH_EN: 0
; COMPUTE_PGM_RSRC2:USER_SGPR: 2
; COMPUTE_PGM_RSRC2:TRAP_HANDLER: 0
; COMPUTE_PGM_RSRC2:TGID_X_EN: 1
; COMPUTE_PGM_RSRC2:TGID_Y_EN: 0
; COMPUTE_PGM_RSRC2:TGID_Z_EN: 0
; COMPUTE_PGM_RSRC2:TIDIG_COMP_CNT: 0
; COMPUTE_PGM_RSRC3_GFX90A:ACCUM_OFFSET: 42
; COMPUTE_PGM_RSRC3_GFX90A:TG_SPLIT: 0
	.section	.text._Z6kernelI9histogramILN6hipcub23BlockHistogramAlgorithmE0EEyLj320ELj16ELj320ELj100EEvPKT0_PS4_,"axG",@progbits,_Z6kernelI9histogramILN6hipcub23BlockHistogramAlgorithmE0EEyLj320ELj16ELj320ELj100EEvPKT0_PS4_,comdat
	.protected	_Z6kernelI9histogramILN6hipcub23BlockHistogramAlgorithmE0EEyLj320ELj16ELj320ELj100EEvPKT0_PS4_ ; -- Begin function _Z6kernelI9histogramILN6hipcub23BlockHistogramAlgorithmE0EEyLj320ELj16ELj320ELj100EEvPKT0_PS4_
	.globl	_Z6kernelI9histogramILN6hipcub23BlockHistogramAlgorithmE0EEyLj320ELj16ELj320ELj100EEvPKT0_PS4_
	.p2align	8
	.type	_Z6kernelI9histogramILN6hipcub23BlockHistogramAlgorithmE0EEyLj320ELj16ELj320ELj100EEvPKT0_PS4_,@function
_Z6kernelI9histogramILN6hipcub23BlockHistogramAlgorithmE0EEyLj320ELj16ELj320ELj100EEvPKT0_PS4_: ; @_Z6kernelI9histogramILN6hipcub23BlockHistogramAlgorithmE0EEyLj320ELj16ELj320ELj100EEvPKT0_PS4_
; %bb.0:
	s_load_dwordx4 s[4:7], s[0:1], 0x0
	s_mulk_i32 s2, 0x140
	v_add_u32_e32 v6, s2, v0
                                        ; implicit-def: $vgpr252 : SGPR spill to VGPR lane
	v_mov_b32_e32 v4, v6
	v_mov_b32_e32 v36, 0
	s_waitcnt lgkmcnt(0)
	v_mov_b32_e32 v2, s4
	v_writelane_b32 v252, s4, 0
	scratch_store_dwordx2 off, v[4:5], off offset:524 ; 8-byte Folded Spill
	v_lshlrev_b32_e32 v4, 4, v6
	v_mov_b32_e32 v3, s5
	v_mov_b32_e32 v5, v36
	v_lshl_add_u64 v[30:31], v[4:5], 3, v[2:3]
	global_load_dwordx4 v[14:17], v[30:31], off
	global_load_dwordx4 v[10:13], v[30:31], off offset:16
	global_load_dwordx4 v[2:5], v[30:31], off offset:48
	;; [unrolled: 1-line block ×3, first 2 shown]
	v_writelane_b32 v252, s5, 1
	v_writelane_b32 v252, s6, 2
	;; [unrolled: 1-line block ×3, first 2 shown]
	global_load_dwordx4 v[18:21], v[30:31], off offset:80
	global_load_dwordx4 v[22:25], v[30:31], off offset:64
                                        ; implicit-def: $vgpr253 : SGPR spill to VGPR lane
                                        ; implicit-def: $vgpr254 : SGPR spill to VGPR lane
	s_waitcnt vmcnt(1)
	v_lshlrev_b32_e32 v19, 3, v0
	scratch_store_dword off, v19, off offset:352 ; 4-byte Folded Spill
                                        ; implicit-def: $vgpr255 : SGPR spill to VGPR lane
	s_movk_i32 s33, 0x140
	v_cmp_gt_u32_e64 s[92:93], s33, v0
	v_mov_b32_e32 v177, v36
	v_mov_b32_e32 v179, v36
	s_movk_i32 s33, 0x64
	v_lshlrev_b32_e32 v37, 30, v14
	v_cmp_gt_i64_e64 s[0:1], 0, v[36:37]
	v_not_b32_e32 v13, v37
	v_lshlrev_b32_e32 v37, 29, v14
	v_writelane_b32 v252, s0, 4
	v_not_b32_e32 v17, v37
	v_ashrrev_i32_e32 v66, 31, v13
	v_writelane_b32 v252, s1, 5
	v_cmp_gt_i64_e64 s[0:1], 0, v[36:37]
	v_lshlrev_b32_e32 v37, 28, v14
	v_not_b32_e32 v65, v37
	v_writelane_b32 v252, s0, 6
	scratch_store_dwordx2 off, v[66:67], off ; 8-byte Folded Spill
	v_ashrrev_i32_e32 v66, 31, v17
	v_writelane_b32 v252, s1, 7
	v_cmp_gt_i64_e64 s[0:1], 0, v[36:37]
	v_lshlrev_b32_e32 v37, 27, v14
	v_not_b32_e32 v57, v37
	v_writelane_b32 v252, s0, 8
	scratch_store_dwordx2 off, v[66:67], off offset:8 ; 8-byte Folded Spill
	v_ashrrev_i32_e32 v66, 31, v65
	v_writelane_b32 v252, s1, 9
	v_cmp_gt_i64_e64 s[0:1], 0, v[36:37]
	v_lshlrev_b32_e32 v37, 26, v14
	v_not_b32_e32 v45, v37
	v_writelane_b32 v252, s0, 10
	scratch_store_dwordx2 off, v[66:67], off offset:16 ; 8-byte Folded Spill
	v_ashrrev_i32_e32 v66, 31, v57
	v_writelane_b32 v252, s1, 11
	v_cmp_gt_i64_e64 s[0:1], 0, v[36:37]
	v_lshlrev_b32_e32 v37, 25, v14
	v_not_b32_e32 v35, v37
	v_writelane_b32 v252, s0, 12
	scratch_store_dwordx2 off, v[66:67], off offset:24 ; 8-byte Folded Spill
	v_ashrrev_i32_e32 v66, 31, v45
	v_writelane_b32 v252, s1, 13
	v_cmp_gt_i64_e64 s[0:1], 0, v[36:37]
	v_lshlrev_b32_e32 v37, 24, v14
	v_not_b32_e32 v41, v37
	v_writelane_b32 v252, s0, 14
	scratch_store_dwordx2 off, v[66:67], off offset:32 ; 8-byte Folded Spill
	v_ashrrev_i32_e32 v66, 31, v35
	v_writelane_b32 v252, s1, 15
	v_cmp_gt_i64_e64 s[0:1], 0, v[36:37]
	v_lshlrev_b32_e32 v37, 23, v14
	v_not_b32_e32 v43, v37
	v_writelane_b32 v252, s0, 16
	scratch_store_dwordx2 off, v[66:67], off offset:40 ; 8-byte Folded Spill
	v_ashrrev_i32_e32 v66, 31, v41
	v_writelane_b32 v252, s1, 17
	v_cmp_gt_i64_e64 s[0:1], 0, v[36:37]
	v_lshlrev_b32_e32 v37, 30, v16
	v_not_b32_e32 v47, v37
	v_writelane_b32 v252, s0, 18
	scratch_store_dwordx2 off, v[66:67], off offset:48 ; 8-byte Folded Spill
	v_ashrrev_i32_e32 v66, 31, v43
	v_writelane_b32 v252, s1, 19
	v_cmp_gt_i64_e64 s[0:1], 0, v[36:37]
	v_lshlrev_b32_e32 v37, 29, v16
	v_not_b32_e32 v49, v37
	v_writelane_b32 v252, s0, 20
	scratch_store_dwordx2 off, v[66:67], off offset:56 ; 8-byte Folded Spill
	v_ashrrev_i32_e32 v66, 31, v47
	v_writelane_b32 v252, s1, 21
	v_cmp_gt_i64_e64 s[0:1], 0, v[36:37]
	v_lshlrev_b32_e32 v37, 28, v16
	v_not_b32_e32 v51, v37
	v_writelane_b32 v252, s0, 22
	scratch_store_dwordx2 off, v[66:67], off offset:64 ; 8-byte Folded Spill
	v_ashrrev_i32_e32 v66, 31, v49
	v_writelane_b32 v252, s1, 23
	v_cmp_gt_i64_e64 s[0:1], 0, v[36:37]
	v_lshlrev_b32_e32 v37, 27, v16
	v_not_b32_e32 v53, v37
	v_writelane_b32 v252, s0, 24
	scratch_store_dwordx2 off, v[66:67], off offset:72 ; 8-byte Folded Spill
	v_ashrrev_i32_e32 v66, 31, v51
	v_writelane_b32 v252, s1, 25
	v_cmp_gt_i64_e64 s[0:1], 0, v[36:37]
	v_lshlrev_b32_e32 v37, 26, v16
	v_not_b32_e32 v55, v37
	v_writelane_b32 v252, s0, 26
	scratch_store_dwordx2 off, v[66:67], off offset:80 ; 8-byte Folded Spill
	v_ashrrev_i32_e32 v66, 31, v53
	v_writelane_b32 v252, s1, 27
	v_cmp_gt_i64_e64 s[0:1], 0, v[36:37]
	v_lshlrev_b32_e32 v37, 25, v16
	v_not_b32_e32 v5, v37
	v_writelane_b32 v252, s0, 28
	scratch_store_dwordx2 off, v[66:67], off offset:88 ; 8-byte Folded Spill
	v_ashrrev_i32_e32 v66, 31, v55
	v_writelane_b32 v252, s1, 29
	v_cmp_gt_i64_e64 s[0:1], 0, v[36:37]
	v_lshlrev_b32_e32 v37, 24, v16
	v_not_b32_e32 v1, v37
	v_writelane_b32 v252, s0, 30
	scratch_store_dwordx2 off, v[66:67], off offset:96 ; 8-byte Folded Spill
	v_ashrrev_i32_e32 v66, 31, v5
	v_writelane_b32 v252, s1, 31
	v_cmp_gt_i64_e64 s[0:1], 0, v[36:37]
	v_lshlrev_b32_e32 v37, 23, v16
	v_not_b32_e32 v3, v37
	v_writelane_b32 v252, s0, 32
	scratch_store_dwordx2 off, v[66:67], off offset:104 ; 8-byte Folded Spill
	v_ashrrev_i32_e32 v66, 31, v1
	v_writelane_b32 v252, s1, 33
	v_cmp_gt_i64_e64 s[0:1], 0, v[36:37]
	v_lshlrev_b32_e32 v37, 30, v10
	v_not_b32_e32 v7, v37
	v_writelane_b32 v252, s0, 34
	scratch_store_dwordx2 off, v[66:67], off offset:112 ; 8-byte Folded Spill
	v_ashrrev_i32_e32 v66, 31, v3
	v_writelane_b32 v252, s1, 35
	v_cmp_gt_i64_e64 s[0:1], 0, v[36:37]
	v_lshlrev_b32_e32 v37, 29, v10
	v_not_b32_e32 v9, v37
	v_writelane_b32 v252, s0, 36
	v_lshlrev_b32_e32 v5, 3, v16
	scratch_store_dword off, v5, off offset:360 ; 4-byte Folded Spill
	v_writelane_b32 v252, s1, 37
	v_cmp_gt_i64_e64 s[0:1], 0, v[36:37]
	v_lshlrev_b32_e32 v37, 28, v10
	v_not_b32_e32 v11, v37
	v_writelane_b32 v252, s0, 38
	scratch_store_dwordx2 off, v[66:67], off offset:120 ; 8-byte Folded Spill
	v_ashrrev_i32_e32 v66, 31, v7
	v_writelane_b32 v252, s1, 39
	v_cmp_gt_i64_e64 s[0:1], 0, v[36:37]
	v_lshlrev_b32_e32 v37, 27, v10
	v_not_b32_e32 v15, v37
	v_writelane_b32 v252, s0, 40
	scratch_store_dwordx2 off, v[66:67], off offset:128 ; 8-byte Folded Spill
	v_ashrrev_i32_e32 v66, 31, v9
	;; [unrolled: 7-line block ×3, first 2 shown]
	v_writelane_b32 v252, s1, 43
	v_cmp_gt_i64_e64 s[0:1], 0, v[36:37]
	v_lshlrev_b32_e32 v37, 25, v10
	v_not_b32_e32 v64, v37
	v_writelane_b32 v252, s0, 44
	v_ashrrev_i32_e32 v76, 31, v15
	v_ashrrev_i32_e32 v78, 31, v39
	v_writelane_b32 v252, s1, 45
	v_cmp_gt_i64_e64 s[0:1], 0, v[36:37]
	v_lshlrev_b32_e32 v37, 24, v10
	v_not_b32_e32 v29, v37
	v_writelane_b32 v252, s0, 46
	v_ashrrev_i32_e32 v82, 31, v29
	v_lshlrev_b32_e32 v19, 3, v14
	v_writelane_b32 v252, s1, 47
	v_cmp_gt_i64_e64 s[0:1], 0, v[36:37]
	v_lshlrev_b32_e32 v37, 23, v10
	v_not_b32_e32 v28, v37
	v_writelane_b32 v252, s0, 48
	v_ashrrev_i32_e32 v84, 31, v28
	v_lshlrev_b32_e32 v28, 3, v10
	v_writelane_b32 v252, s1, 49
	v_cmp_gt_i64_e64 s[0:1], 0, v[36:37]
	v_lshlrev_b32_e32 v37, 30, v12
	v_not_b32_e32 v27, v37
	v_writelane_b32 v252, s0, 50
	scratch_store_dword off, v28, off offset:364 ; 4-byte Folded Spill
	v_ashrrev_i32_e32 v86, 31, v27
	v_writelane_b32 v252, s1, 51
	v_cmp_gt_i64_e64 s[0:1], 0, v[36:37]
	v_lshlrev_b32_e32 v37, 29, v12
	v_not_b32_e32 v26, v37
	v_writelane_b32 v252, s0, 52
	v_ashrrev_i32_e32 v88, 31, v26
	global_load_dwordx4 v[26:29], v[30:31], off offset:96
	v_writelane_b32 v252, s1, 53
	v_cmp_gt_i64_e64 s[0:1], 0, v[36:37]
	v_lshlrev_b32_e32 v37, 28, v12
	v_not_b32_e32 v68, v37
	v_writelane_b32 v252, s0, 54
	scratch_store_dword off, v19, off offset:356 ; 4-byte Folded Spill
	v_ashrrev_i32_e32 v80, 31, v64
	v_writelane_b32 v252, s1, 55
	v_cmp_gt_i64_e64 s[0:1], 0, v[36:37]
	v_lshlrev_b32_e32 v37, 27, v12
	v_not_b32_e32 v69, v37
	v_writelane_b32 v252, s0, 56
	scratch_store_dwordx2 off, v[66:67], off offset:144 ; 8-byte Folded Spill
	v_ashrrev_i32_e32 v90, 31, v68
	v_writelane_b32 v252, s1, 57
	v_cmp_gt_i64_e64 s[0:1], 0, v[36:37]
	v_lshlrev_b32_e32 v37, 26, v12
	v_not_b32_e32 v70, v37
	v_writelane_b32 v252, s0, 58
	v_ashrrev_i32_e32 v92, 31, v69
	v_ashrrev_i32_e32 v94, 31, v70
	v_writelane_b32 v252, s1, 59
	v_cmp_gt_i64_e64 s[0:1], 0, v[36:37]
	v_lshlrev_b32_e32 v37, 25, v12
	v_not_b32_e32 v63, v37
	v_writelane_b32 v252, s0, 60
	s_waitcnt vmcnt(2)
	v_lshlrev_b32_e32 v29, 3, v12
	scratch_store_dword off, v29, off offset:368 ; 4-byte Folded Spill
	v_writelane_b32 v252, s1, 61
	v_cmp_gt_i64_e64 s[0:1], 0, v[36:37]
	v_lshlrev_b32_e32 v37, 24, v12
	v_not_b32_e32 v62, v37
	v_writelane_b32 v252, s0, 62
	v_lshlrev_b32_e32 v29, 3, v6
	scratch_store_dword off, v29, off offset:372 ; 4-byte Folded Spill
	v_writelane_b32 v252, s1, 63
	v_cmp_gt_i64_e64 s[0:1], 0, v[36:37]
	v_lshlrev_b32_e32 v37, 23, v12
	v_not_b32_e32 v61, v37
	v_writelane_b32 v253, s0, 0
	;; [unrolled: 7-line block ×5, first 2 shown]
	v_ashrrev_i32_e32 v106, 31, v58
	v_and_b32_e32 v58, 1, v10
	v_writelane_b32 v253, s1, 7
	v_cmp_gt_i64_e64 s[0:1], 0, v[36:37]
	v_lshlrev_b32_e32 v37, 27, v6
	v_not_b32_e32 v56, v37
	v_writelane_b32 v253, s0, 8
	v_lshlrev_b32_e32 v29, 3, v22
	scratch_store_dword off, v29, off offset:388 ; 4-byte Folded Spill
	v_writelane_b32 v253, s1, 9
	v_cmp_gt_i64_e64 s[0:1], 0, v[36:37]
	v_lshlrev_b32_e32 v37, 26, v6
	v_not_b32_e32 v54, v37
	v_writelane_b32 v253, s0, 10
	v_ashrrev_i32_e32 v110, 31, v54
	v_and_b32_e32 v54, 1, v6
	v_writelane_b32 v253, s1, 11
	v_cmp_gt_i64_e64 s[0:1], 0, v[36:37]
	v_lshlrev_b32_e32 v37, 25, v6
	v_not_b32_e32 v52, v37
	v_writelane_b32 v253, s0, 12
	v_ashrrev_i32_e32 v112, 31, v52
	v_and_b32_e32 v52, 1, v8
	;; [unrolled: 7-line block ×4, first 2 shown]
	v_writelane_b32 v253, s1, 17
	v_cmp_gt_i64_e64 s[0:1], 0, v[36:37]
	v_lshlrev_b32_e32 v37, 30, v8
	v_not_b32_e32 v46, v37
	v_writelane_b32 v253, s0, 18
	v_lshlrev_b32_e32 v29, 3, v24
	scratch_store_dword off, v29, off offset:392 ; 4-byte Folded Spill
	v_writelane_b32 v253, s1, 19
	v_cmp_gt_i64_e64 s[0:1], 0, v[36:37]
	v_lshlrev_b32_e32 v37, 29, v8
	v_not_b32_e32 v33, v37
	v_writelane_b32 v253, s0, 20
	v_ashrrev_i32_e32 v120, 31, v33
	v_lshlrev_b32_e32 v29, 3, v18
	v_writelane_b32 v253, s1, 21
	v_cmp_gt_i64_e64 s[0:1], 0, v[36:37]
	v_lshlrev_b32_e32 v37, 28, v8
	v_not_b32_e32 v32, v37
	v_writelane_b32 v253, s0, 22
	v_ashrrev_i32_e32 v122, 31, v32
	global_load_dwordx4 v[30:33], v[30:31], off offset:112
	v_writelane_b32 v253, s1, 23
	v_cmp_gt_i64_e64 s[0:1], 0, v[36:37]
	v_lshlrev_b32_e32 v37, 27, v8
	v_not_b32_e32 v34, v37
	v_writelane_b32 v253, s0, 24
	scratch_store_dword off, v29, off offset:396 ; 4-byte Folded Spill
	v_lshlrev_b32_e32 v29, 3, v20
	v_writelane_b32 v253, s1, 25
	v_cmp_gt_i64_e64 s[0:1], 0, v[36:37]
	v_lshlrev_b32_e32 v37, 26, v8
	v_not_b32_e32 v38, v37
	v_writelane_b32 v253, s0, 26
	scratch_store_dword off, v29, off offset:400 ; 4-byte Folded Spill
	v_lshlrev_b32_e32 v29, 3, v26
	v_writelane_b32 v253, s1, 27
	v_cmp_gt_i64_e64 s[0:1], 0, v[36:37]
	v_lshlrev_b32_e32 v37, 25, v8
	v_not_b32_e32 v40, v37
	v_writelane_b32 v253, s0, 28
	v_ashrrev_i32_e32 v96, 31, v63
	v_ashrrev_i32_e32 v98, 31, v62
	v_writelane_b32 v253, s1, 29
	v_cmp_gt_i64_e64 s[0:1], 0, v[36:37]
	v_lshlrev_b32_e32 v37, 24, v8
	v_not_b32_e32 v42, v37
	v_writelane_b32 v253, s0, 30
	scratch_store_dword off, v29, off offset:404 ; 4-byte Folded Spill
	v_lshlrev_b32_e32 v29, 3, v28
	v_writelane_b32 v253, s1, 31
	v_cmp_gt_i64_e64 s[0:1], 0, v[36:37]
	v_lshlrev_b32_e32 v37, 23, v8
	v_not_b32_e32 v44, v37
	v_writelane_b32 v253, s0, 32
	v_and_b32_e32 v62, 1, v14
	v_mov_b32_e32 v63, v36
	v_writelane_b32 v253, s1, 33
	v_cmp_gt_i64_e64 s[0:1], 0, v[36:37]
	v_lshlrev_b32_e32 v37, 30, v2
	v_not_b32_e32 v13, v37
	v_writelane_b32 v253, s0, 34
	v_ashrrev_i32_e32 v118, 31, v46
	v_ashrrev_i32_e32 v124, 31, v34
	v_writelane_b32 v253, s1, 35
	v_cmp_gt_i64_e64 s[0:1], 0, v[36:37]
	v_lshlrev_b32_e32 v37, 29, v2
	v_not_b32_e32 v17, v37
	v_writelane_b32 v253, s0, 36
	scratch_store_dword off, v29, off offset:408 ; 4-byte Folded Spill
	v_and_b32_e32 v46, 1, v22
	v_writelane_b32 v253, s1, 37
	v_cmp_gt_i64_e64 s[0:1], 0, v[36:37]
	v_lshlrev_b32_e32 v37, 28, v2
	v_not_b32_e32 v21, v37
	v_writelane_b32 v253, s0, 38
	v_ashrrev_i32_e32 v6, 31, v21
	v_and_b32_e32 v34, 1, v28
	v_writelane_b32 v253, s1, 39
	v_cmp_gt_i64_e64 s[0:1], 0, v[36:37]
	v_lshlrev_b32_e32 v37, 27, v2
	v_not_b32_e32 v23, v37
	v_writelane_b32 v253, s0, 40
	v_ashrrev_i32_e32 v8, 31, v23
	v_cmp_eq_u32_e64 s[74:75], 1, v46
	v_writelane_b32 v253, s1, 41
	v_cmp_gt_i64_e64 s[0:1], 0, v[36:37]
	v_lshlrev_b32_e32 v37, 26, v2
	v_not_b32_e32 v25, v37
	v_writelane_b32 v253, s0, 42
	v_ashrrev_i32_e32 v10, 31, v25
	v_cmp_eq_u32_e64 s[72:73], 1, v48
	v_writelane_b32 v253, s1, 43
	v_cmp_gt_i64_e64 s[0:1], 0, v[36:37]
	v_lshlrev_b32_e32 v37, 25, v2
	v_not_b32_e32 v35, v37
	v_writelane_b32 v253, s0, 44
	v_cmp_eq_u32_e64 s[70:71], 1, v50
	v_ashrrev_i32_e32 v104, 31, v59
	v_writelane_b32 v253, s1, 45
	v_cmp_gt_i64_e64 s[0:1], 0, v[36:37]
	v_lshlrev_b32_e32 v37, 24, v2
	v_not_b32_e32 v41, v37
	v_writelane_b32 v253, s0, 46
	s_waitcnt vmcnt(4)
	v_lshlrev_b32_e32 v31, 3, v30
	scratch_store_dword off, v31, off offset:412 ; 4-byte Folded Spill
	v_writelane_b32 v253, s1, 47
	v_cmp_gt_i64_e64 s[0:1], 0, v[36:37]
	v_lshlrev_b32_e32 v37, 23, v2
	v_not_b32_e32 v43, v37
	v_writelane_b32 v253, s0, 48
	v_ashrrev_i32_e32 v2, 31, v13
	v_lshlrev_b32_e32 v31, 3, v32
	v_writelane_b32 v253, s1, 49
	v_cmp_gt_i64_e64 s[0:1], 0, v[36:37]
	v_lshlrev_b32_e32 v37, 30, v4
	v_not_b32_e32 v45, v37
	v_writelane_b32 v253, s0, 50
	v_and_b32_e32 v178, 1, v32
	v_mov_b32_e32 v59, v36
	v_writelane_b32 v253, s1, 51
	v_cmp_gt_i64_e64 s[0:1], 0, v[36:37]
	v_lshlrev_b32_e32 v37, 29, v4
	v_not_b32_e32 v47, v37
	v_writelane_b32 v253, s0, 52
	scratch_store_dword off, v31, off offset:416 ; 4-byte Folded Spill
	v_and_b32_e32 v176, 1, v30
	v_writelane_b32 v253, s1, 53
	v_cmp_gt_i64_e64 s[0:1], 0, v[36:37]
	v_lshlrev_b32_e32 v37, 28, v4
	v_not_b32_e32 v49, v37
	v_writelane_b32 v253, s0, 54
	v_cmp_eq_u32_e64 s[62:63], 1, v58
	v_cmp_eq_u32_e64 s[66:67], 1, v54
	v_writelane_b32 v253, s1, 55
	v_cmp_gt_i64_e64 s[0:1], 0, v[36:37]
	v_lshlrev_b32_e32 v37, 27, v4
	v_not_b32_e32 v51, v37
	v_writelane_b32 v253, s0, 56
	v_ashrrev_i32_e32 v100, 31, v61
	v_ashrrev_i32_e32 v102, 31, v60
	v_writelane_b32 v253, s1, 57
	v_cmp_gt_i64_e64 s[0:1], 0, v[36:37]
	v_lshlrev_b32_e32 v37, 26, v4
	v_not_b32_e32 v53, v37
	v_writelane_b32 v253, s0, 58
	v_and_b32_e32 v60, 1, v16
	v_mov_b32_e32 v61, v36
	v_writelane_b32 v253, s1, 59
	v_cmp_gt_i64_e64 s[0:1], 0, v[36:37]
	v_lshlrev_b32_e32 v37, 25, v4
	v_not_b32_e32 v57, v37
	v_writelane_b32 v253, s0, 60
	v_lshl_add_u64 v[138:139], v[60:61], 0, -1
	v_cmp_eq_u32_e64 s[60:61], 1, v60
	v_writelane_b32 v253, s1, 61
	v_cmp_gt_i64_e64 s[0:1], 0, v[36:37]
	v_lshlrev_b32_e32 v37, 24, v4
	v_not_b32_e32 v55, v37
	v_writelane_b32 v253, s0, 62
	v_ashrrev_i32_e32 v136, 31, v55
	v_mov_b32_e32 v55, v36
	v_writelane_b32 v253, s1, 63
	v_cmp_gt_i64_e64 s[0:1], 0, v[36:37]
	v_lshlrev_b32_e32 v37, 23, v4
	v_not_b32_e32 v1, v37
	v_writelane_b32 v254, s0, 0
	v_ashrrev_i32_e32 v4, 31, v17
	v_ashrrev_i32_e32 v148, 31, v1
	v_writelane_b32 v254, s1, 1
	v_cmp_gt_i64_e64 s[0:1], 0, v[36:37]
	v_lshlrev_b32_e32 v37, 30, v22
	v_not_b32_e32 v3, v37
	v_writelane_b32 v254, s0, 2
	v_lshl_add_u64 v[146:147], v[54:55], 0, -1
	v_cmp_eq_u32_e64 s[84:85], 1, v34
	v_writelane_b32 v254, s1, 3
	v_cmp_gt_i64_e64 s[0:1], 0, v[36:37]
	v_lshlrev_b32_e32 v37, 29, v22
	v_not_b32_e32 v5, v37
	v_writelane_b32 v254, s0, 4
	v_ashrrev_i32_e32 v126, 31, v38
	v_and_b32_e32 v38, 1, v26
	v_writelane_b32 v254, s1, 5
	v_cmp_gt_i64_e64 s[0:1], 0, v[36:37]
	v_lshlrev_b32_e32 v37, 28, v22
	v_not_b32_e32 v7, v37
	v_writelane_b32 v254, s0, 6
	v_cmp_eq_u32_e64 s[82:83], 1, v38
	v_ashrrev_i32_e32 v128, 31, v40
	v_writelane_b32 v254, s1, 7
	v_cmp_gt_i64_e64 s[0:1], 0, v[36:37]
	v_lshlrev_b32_e32 v37, 27, v22
	v_not_b32_e32 v9, v37
	v_writelane_b32 v254, s0, 8
	v_and_b32_e32 v40, 1, v20
	v_cmp_eq_u32_e64 s[68:69], 1, v52
	v_writelane_b32 v254, s1, 9
	v_cmp_gt_i64_e64 s[0:1], 0, v[36:37]
	v_lshlrev_b32_e32 v37, 26, v22
	v_not_b32_e32 v11, v37
	v_writelane_b32 v254, s0, 10
	scratch_store_dwordx2 off, v[10:11], off offset:420 ; 8-byte Folded Spill
	v_ashrrev_i32_e32 v10, 31, v35
	v_writelane_b32 v254, s1, 11
	v_cmp_gt_i64_e64 s[0:1], 0, v[36:37]
	v_lshlrev_b32_e32 v37, 25, v22
	v_not_b32_e32 v15, v37
	v_writelane_b32 v254, s0, 12
	scratch_store_dwordx2 off, v[10:11], off offset:428 ; 8-byte Folded Spill
	v_ashrrev_i32_e32 v10, 31, v41
	;; [unrolled: 7-line block ×5, first 2 shown]
	v_writelane_b32 v254, s1, 19
	v_cmp_gt_i64_e64 s[0:1], 0, v[36:37]
	v_lshlrev_b32_e32 v37, 29, v24
	v_not_b32_e32 v64, v37
	v_writelane_b32 v254, s0, 20
	v_mov_b32_e32 v47, v36
	v_lshl_add_u64 v[150:151], v[46:47], 0, -1
	v_writelane_b32 v254, s1, 21
	v_cmp_gt_i64_e64 s[0:1], 0, v[36:37]
	v_lshlrev_b32_e32 v37, 28, v24
	v_not_b32_e32 v66, v37
	v_writelane_b32 v254, s0, 22
	scratch_store_dwordx2 off, v[10:11], off offset:460 ; 8-byte Folded Spill
	v_ashrrev_i32_e32 v10, 31, v49
	v_writelane_b32 v254, s1, 23
	v_cmp_gt_i64_e64 s[0:1], 0, v[36:37]
	v_lshlrev_b32_e32 v37, 27, v24
	v_not_b32_e32 v67, v37
	v_writelane_b32 v254, s0, 24
	v_mov_b32_e32 v49, v36
	v_lshl_add_u64 v[144:145], v[48:49], 0, -1
	v_writelane_b32 v254, s1, 25
	v_cmp_gt_i64_e64 s[0:1], 0, v[36:37]
	v_lshlrev_b32_e32 v37, 26, v24
	v_not_b32_e32 v27, v37
	v_writelane_b32 v254, s0, 26
	v_ashrrev_i32_e32 v0, 31, v65
	scratch_store_dwordx2 off, v[10:11], off offset:468 ; 8-byte Folded Spill
	v_writelane_b32 v254, s1, 27
	v_cmp_gt_i64_e64 s[0:1], 0, v[36:37]
	v_lshlrev_b32_e32 v37, 25, v24
	v_not_b32_e32 v68, v37
	v_writelane_b32 v254, s0, 28
	v_ashrrev_i32_e32 v10, 31, v51
	v_mov_b32_e32 v51, v36
	v_writelane_b32 v254, s1, 29
	v_cmp_gt_i64_e64 s[0:1], 0, v[36:37]
	v_lshlrev_b32_e32 v37, 24, v24
	v_not_b32_e32 v69, v37
	v_writelane_b32 v254, s0, 30
	v_ashrrev_i32_e32 v190, 31, v68
	v_mov_b32_e32 v35, v36
	v_writelane_b32 v254, s1, 31
	v_cmp_gt_i64_e64 s[0:1], 0, v[36:37]
	v_lshlrev_b32_e32 v37, 23, v24
	v_not_b32_e32 v70, v37
	v_writelane_b32 v254, s0, 32
	v_ashrrev_i32_e32 v194, 31, v70
	v_lshl_add_u64 v[174:175], v[34:35], 0, -1
	v_writelane_b32 v254, s1, 33
	v_cmp_gt_i64_e64 s[0:1], 0, v[36:37]
	v_lshlrev_b32_e32 v37, 30, v18
	v_not_b32_e32 v71, v37
	v_writelane_b32 v254, s0, 34
	scratch_store_dwordx2 off, v[10:11], off offset:476 ; 8-byte Folded Spill
	v_ashrrev_i32_e32 v164, 31, v39
	v_writelane_b32 v254, s1, 35
	v_cmp_gt_i64_e64 s[0:1], 0, v[36:37]
	v_lshlrev_b32_e32 v37, 29, v18
	v_not_b32_e32 v72, v37
	v_writelane_b32 v254, s0, 36
	v_mov_b32_e32 v39, v36
	v_lshl_add_u64 v[172:173], v[38:39], 0, -1
	v_writelane_b32 v254, s1, 37
	v_cmp_gt_i64_e64 s[0:1], 0, v[36:37]
	v_lshlrev_b32_e32 v37, 28, v18
	v_not_b32_e32 v73, v37
	v_writelane_b32 v254, s0, 38
	v_ashrrev_i32_e32 v198, 31, v72
	v_ashrrev_i32_e32 v10, 31, v53
	v_writelane_b32 v254, s1, 39
	v_cmp_gt_i64_e64 s[0:1], 0, v[36:37]
	v_lshlrev_b32_e32 v37, 27, v18
	v_not_b32_e32 v74, v37
	v_writelane_b32 v254, s0, 40
	scratch_store_dwordx2 off, v[10:11], off offset:484 ; 8-byte Folded Spill
	v_mov_b32_e32 v53, v36
	v_writelane_b32 v254, s1, 41
	v_cmp_gt_i64_e64 s[0:1], 0, v[36:37]
	v_lshlrev_b32_e32 v37, 26, v18
	v_not_b32_e32 v75, v37
	v_writelane_b32 v254, s0, 42
	v_mov_b32_e32 v41, v36
	v_lshl_add_u64 v[140:141], v[52:53], 0, -1
	v_writelane_b32 v254, s1, 43
	v_cmp_gt_i64_e64 s[0:1], 0, v[36:37]
	v_lshlrev_b32_e32 v37, 25, v18
	v_not_b32_e32 v77, v37
	v_writelane_b32 v254, s0, 44
	v_cmp_eq_u32_e64 s[80:81], 1, v40
	v_lshl_add_u64 v[170:171], v[40:41], 0, -1
	v_writelane_b32 v254, s1, 45
	v_cmp_gt_i64_e64 s[0:1], 0, v[36:37]
	v_lshlrev_b32_e32 v37, 24, v18
	v_not_b32_e32 v79, v37
	v_writelane_b32 v254, s0, 46
	v_ashrrev_i32_e32 v130, 31, v42
	v_and_b32_e32 v42, 1, v18
	v_writelane_b32 v254, s1, 47
	v_cmp_gt_i64_e64 s[0:1], 0, v[36:37]
	v_lshlrev_b32_e32 v37, 23, v18
	v_not_b32_e32 v81, v37
	v_writelane_b32 v254, s0, 48
	v_mov_b32_e32 v43, v36
	v_cmp_eq_u32_e64 s[78:79], 1, v42
	v_writelane_b32 v254, s1, 49
	v_cmp_gt_i64_e64 s[0:1], 0, v[36:37]
	v_lshlrev_b32_e32 v37, 30, v20
	v_not_b32_e32 v83, v37
	v_writelane_b32 v254, s0, 50
	v_lshl_add_u64 v[168:169], v[42:43], 0, -1
	v_ashrrev_i32_e32 v202, 31, v74
	v_writelane_b32 v254, s1, 51
	v_cmp_gt_i64_e64 s[0:1], 0, v[36:37]
	v_lshlrev_b32_e32 v37, 29, v20
	v_not_b32_e32 v85, v37
	v_writelane_b32 v254, s0, 52
	v_ashrrev_i32_e32 v108, 31, v56
	v_ashrrev_i32_e32 v132, 31, v44
	v_writelane_b32 v254, s1, 53
	v_cmp_gt_i64_e64 s[0:1], 0, v[36:37]
	v_lshlrev_b32_e32 v37, 28, v20
	v_not_b32_e32 v87, v37
	v_writelane_b32 v254, s0, 54
	v_and_b32_e32 v56, 1, v12
	v_and_b32_e32 v44, 1, v24
	v_writelane_b32 v254, s1, 55
	v_cmp_gt_i64_e64 s[0:1], 0, v[36:37]
	v_lshlrev_b32_e32 v37, 27, v20
	v_not_b32_e32 v89, v37
	v_writelane_b32 v254, s0, 56
	v_mov_b32_e32 v45, v36
	v_cmp_eq_u32_e64 s[58:59], 1, v62
	v_writelane_b32 v254, s1, 57
	v_cmp_gt_i64_e64 s[0:1], 0, v[36:37]
	v_lshlrev_b32_e32 v37, 26, v20
	v_not_b32_e32 v91, v37
	v_writelane_b32 v254, s0, 58
	v_ashrrev_i32_e32 v162, 31, v15
	v_cmp_eq_u32_e64 s[76:77], 1, v44
	v_writelane_b32 v254, s1, 59
	v_cmp_gt_i64_e64 s[0:1], 0, v[36:37]
	v_lshlrev_b32_e32 v37, 25, v20
	v_not_b32_e32 v93, v37
	v_writelane_b32 v254, s0, 60
	v_lshl_add_u64 v[166:167], v[44:45], 0, -1
	v_ashrrev_i32_e32 v180, 31, v19
	v_writelane_b32 v254, s1, 61
	v_cmp_gt_i64_e64 s[0:1], 0, v[36:37]
	v_lshlrev_b32_e32 v37, 24, v20
	v_not_b32_e32 v95, v37
	v_writelane_b32 v254, s0, 62
	v_ashrrev_i32_e32 v184, 31, v66
	v_ashrrev_i32_e32 v188, 31, v27
	v_writelane_b32 v254, s1, 63
	v_cmp_gt_i64_e64 s[0:1], 0, v[36:37]
	v_lshlrev_b32_e32 v37, 23, v20
	v_not_b32_e32 v97, v37
	v_writelane_b32 v255, s0, 0
	v_ashrrev_i32_e32 v134, 31, v57
	v_mov_b32_e32 v57, v36
	v_writelane_b32 v255, s1, 1
	v_cmp_gt_i64_e64 s[0:1], 0, v[36:37]
	v_lshlrev_b32_e32 v37, 30, v26
	v_not_b32_e32 v99, v37
	v_writelane_b32 v255, s0, 2
	v_lshl_add_u64 v[142:143], v[56:57], 0, -1
	v_cmp_eq_u32_e64 s[64:65], 1, v56
	v_writelane_b32 v255, s1, 3
	v_cmp_gt_i64_e64 s[0:1], 0, v[36:37]
	v_lshlrev_b32_e32 v37, 29, v26
	v_not_b32_e32 v101, v37
	v_cmp_gt_i64_e64 s[96:97], 0, v[36:37]
	v_lshlrev_b32_e32 v37, 28, v26
	v_writelane_b32 v255, s0, 4
	v_not_b32_e32 v103, v37
	v_cmp_gt_i64_e64 s[98:99], 0, v[36:37]
	v_lshlrev_b32_e32 v37, 27, v26
	v_writelane_b32 v255, s1, 5
	v_not_b32_e32 v105, v37
	v_cmp_gt_i64_e64 s[0:1], 0, v[36:37]
	v_lshlrev_b32_e32 v37, 26, v26
	v_not_b32_e32 v107, v37
	v_cmp_gt_i64_e64 s[2:3], 0, v[36:37]
	v_lshlrev_b32_e32 v37, 25, v26
	;; [unrolled: 3-line block ×24, first 2 shown]
	v_lshl_add_u64 v[28:29], v[62:63], 0, -1
	v_not_b32_e32 v63, v37
	v_cmp_gt_i64_e64 s[50:51], 0, v[36:37]
	v_lshlrev_b32_e32 v37, 26, v32
	v_not_b32_e32 v155, v37
	v_cmp_gt_i64_e64 s[52:53], 0, v[36:37]
	v_lshlrev_b32_e32 v37, 25, v32
	v_ashrrev_i32_e32 v46, 31, v63
	v_not_b32_e32 v157, v37
	v_cmp_gt_i64_e64 s[54:55], 0, v[36:37]
	v_lshlrev_b32_e32 v37, 24, v32
	scratch_store_dwordx2 off, v[46:47], off offset:492 ; 8-byte Folded Spill
	v_ashrrev_i32_e32 v46, 31, v155
	v_not_b32_e32 v159, v37
	scratch_store_dwordx2 off, v[46:47], off offset:500 ; 8-byte Folded Spill
	v_ashrrev_i32_e32 v46, 31, v157
	scratch_store_dwordx2 off, v[46:47], off offset:508 ; 8-byte Folded Spill
	v_ashrrev_i32_e32 v46, 31, v159
	scratch_store_dwordx2 off, v[46:47], off offset:516 ; 8-byte Folded Spill
	scratch_load_dwordx2 v[46:47], off, off ; 8-byte Folded Reload
	v_cmp_gt_i64_e64 s[56:57], 0, v[36:37]
	v_lshlrev_b32_e32 v37, 23, v32
	v_not_b32_e32 v1, v37
	v_ashrrev_i32_e32 v48, 31, v1
	v_lshl_add_u64 v[32:33], v[50:51], 0, -1
	v_ashrrev_i32_e32 v242, 31, v113
	v_lshl_add_u64 v[30:31], v[58:59], 0, -1
	v_ashrrev_i32_e32 v244, 31, v115
	v_ashrrev_i32_e32 v246, 31, v117
	;; [unrolled: 1-line block ×19, first 2 shown]
	v_mov_b32_e32 v66, v12
	v_mov_b32_e32 v13, v12
	;; [unrolled: 1-line block ×16, first 2 shown]
	v_ashrrev_i32_e32 v158, 31, v9
	v_mov_b32_e32 v56, v62
	v_mov_b32_e32 v9, v62
	v_ashrrev_i32_e32 v152, 31, v3
	v_ashrrev_i32_e32 v154, 31, v5
	;; [unrolled: 1-line block ×28, first 2 shown]
	v_cmp_eq_u32_e64 s[86:87], 1, v176
	v_lshl_add_u64 v[176:177], v[176:177], 0, -1
	v_cmp_eq_u32_e64 s[88:89], 1, v178
	v_lshl_add_u64 v[178:179], v[178:179], 0, -1
	v_cmp_gt_i64_e64 s[90:91], 0, v[36:37]
	v_mov_b32_e32 v51, v80
	s_waitcnt vmcnt(0)
	v_mov_b32_e32 v1, v46
	scratch_load_dwordx2 v[46:47], off, off offset:8 ; 8-byte Folded Reload
	v_mov_b32_e32 v53, v82
	scratch_store_dwordx2 off, v[0:1], off offset:184 ; 8-byte Folded Spill
	v_mov_b32_e32 v55, v84
	v_mov_b32_e32 v57, v86
	;; [unrolled: 1-line block ×77, first 2 shown]
	s_waitcnt vmcnt(1)
	v_mov_b32_e32 v1, v46
	scratch_load_dwordx2 v[46:47], off, off offset:16 ; 8-byte Folded Reload
	v_mov_b32_e32 v3, v40
	scratch_store_dwordx2 off, v[0:1], off offset:192 ; 8-byte Folded Spill
	v_mov_b32_e32 v5, v42
	v_mov_b32_e32 v7, v44
	;; [unrolled: 1-line block ×5, first 2 shown]
	s_waitcnt vmcnt(1)
	v_mov_b32_e32 v1, v46
	scratch_load_dwordx2 v[46:47], off, off offset:24 ; 8-byte Folded Reload
	s_nop 0
	scratch_store_dwordx2 off, v[0:1], off offset:200 ; 8-byte Folded Spill
	s_waitcnt vmcnt(1)
	v_mov_b32_e32 v1, v46
	scratch_load_dwordx2 v[46:47], off, off offset:32 ; 8-byte Folded Reload
	s_nop 0
	scratch_store_dwordx2 off, v[0:1], off offset:208 ; 8-byte Folded Spill
	;; [unrolled: 5-line block ×16, first 2 shown]
	s_waitcnt vmcnt(1)
	v_mov_b32_e32 v1, v46
	v_mov_b32_e32 v46, v76
	scratch_store_dwordx2 off, v[46:47], off offset:152 ; 8-byte Folded Spill
	v_mov_b32_e32 v46, v78
	scratch_store_dwordx2 off, v[46:47], off offset:160 ; 8-byte Folded Spill
	v_mov_b32_e32 v46, v80
	scratch_store_dwordx2 off, v[46:47], off offset:168 ; 8-byte Folded Spill
	v_mov_b32_e32 v46, v82
	scratch_store_dwordx2 off, v[46:47], off offset:176 ; 8-byte Folded Spill
	scratch_load_dwordx2 v[46:47], off, off offset:420 ; 8-byte Folded Reload
	v_mov_b32_e32 v82, v48
	scratch_store_dwordx2 off, v[0:1], off offset:328 ; 8-byte Folded Spill
	v_mov_b32_e32 v1, v76
	scratch_store_dwordx2 off, v[0:1], off offset:336 ; 8-byte Folded Spill
	;; [unrolled: 2-line block ×3, first 2 shown]
	v_mov_b32_e32 v1, v38
	s_waitcnt vmcnt(3)
	v_mov_b32_e32 v50, v46
	v_mov_b32_e32 v113, v46
	scratch_load_dwordx2 v[46:47], off, off offset:428 ; 8-byte Folded Reload
	s_waitcnt vmcnt(0)
	v_mov_b32_e32 v58, v46
	v_mov_b32_e32 v115, v46
	scratch_load_dwordx2 v[46:47], off, off offset:436 ; 8-byte Folded Reload
	;; [unrolled: 4-line block ×12, first 2 shown]
	s_waitcnt vmcnt(0)
	v_mov_b32_e32 v80, v46
	v_mov_b32_e32 v43, v46
	;; [unrolled: 1-line block ×3, first 2 shown]
	s_branch .LBB29_2
.LBB29_1:                               ;   in Loop: Header=BB29_2 Depth=1
	s_or_b64 exec, exec, s[94:95]
	s_add_i32 s33, s33, -1
	s_cmp_lg_u32 s33, 0
	s_waitcnt lgkmcnt(0)
	s_barrier
	s_cbranch_scc0 .LBB29_36
.LBB29_2:                               ; =>This Inner Loop Header: Depth=1
	s_and_saveexec_b64 s[94:95], s[92:93]
	s_cbranch_execz .LBB29_4
; %bb.3:                                ;   in Loop: Header=BB29_2 Depth=1
	scratch_load_dword v46, off, off offset:352 ; 4-byte Folded Reload
	v_mov_b32_e32 v37, v36
	s_waitcnt vmcnt(0)
	ds_write_b64 v46, v[36:37]
.LBB29_4:                               ;   in Loop: Header=BB29_2 Depth=1
	s_or_b64 exec, exec, s[94:95]
	s_waitcnt lgkmcnt(0)
	s_barrier
	scratch_load_dwordx2 v[48:49], off, off offset:184 ; 8-byte Folded Reload
	v_readlane_b32 s94, v252, 4
	v_cndmask_b32_e64 v37, 0, 1, s[58:59]
	v_readlane_b32 s95, v252, 5
	v_cmp_ne_u32_e32 vcc, 0, v37
	s_nop 0
	v_cndmask_b32_e64 v47, 0, 1, s[94:95]
	v_xor_b32_e32 v37, vcc_hi, v29
	v_xor_b32_e32 v46, vcc_lo, v28
	v_cmp_ne_u32_e32 vcc, 0, v47
	v_readlane_b32 s94, v252, 6
	v_and_b32_e32 v37, exec_hi, v37
	v_readlane_b32 s95, v252, 7
	v_and_b32_e32 v46, exec_lo, v46
	s_waitcnt vmcnt(0)
	v_xor_b32_e32 v47, vcc_hi, v49
	scratch_load_dwordx2 v[48:49], off, off ; 8-byte Folded Reload
	v_and_b32_e32 v37, v37, v47
	v_cndmask_b32_e64 v47, 0, 1, s[94:95]
	v_readlane_b32 s94, v252, 8
	v_readlane_b32 s95, v252, 9
	s_waitcnt vmcnt(0)
	v_xor_b32_e32 v76, vcc_lo, v48
	scratch_load_dwordx2 v[48:49], off, off offset:192 ; 8-byte Folded Reload
	v_cmp_ne_u32_e32 vcc, 0, v47
	v_and_b32_e32 v46, v46, v76
	s_waitcnt vmcnt(0)
	v_xor_b32_e32 v47, vcc_hi, v49
	scratch_load_dwordx2 v[48:49], off, off offset:8 ; 8-byte Folded Reload
	v_and_b32_e32 v37, v37, v47
	v_cndmask_b32_e64 v47, 0, 1, s[94:95]
	v_readlane_b32 s94, v252, 10
	v_readlane_b32 s95, v252, 11
	s_waitcnt vmcnt(0)
	v_xor_b32_e32 v76, vcc_lo, v48
	scratch_load_dwordx2 v[48:49], off, off offset:200 ; 8-byte Folded Reload
	v_cmp_ne_u32_e32 vcc, 0, v47
	v_and_b32_e32 v46, v46, v76
	s_waitcnt vmcnt(0)
	v_xor_b32_e32 v47, vcc_hi, v49
	scratch_load_dwordx2 v[48:49], off, off offset:16 ; 8-byte Folded Reload
	v_and_b32_e32 v37, v37, v47
	v_cndmask_b32_e64 v47, 0, 1, s[94:95]
	v_readlane_b32 s94, v252, 12
	v_readlane_b32 s95, v252, 13
	s_waitcnt vmcnt(0)
	v_xor_b32_e32 v76, vcc_lo, v48
	scratch_load_dwordx2 v[48:49], off, off offset:208 ; 8-byte Folded Reload
	v_cmp_ne_u32_e32 vcc, 0, v47
	v_and_b32_e32 v46, v46, v76
	s_waitcnt vmcnt(0)
	v_xor_b32_e32 v47, vcc_hi, v49
	scratch_load_dwordx2 v[48:49], off, off offset:24 ; 8-byte Folded Reload
	v_and_b32_e32 v37, v37, v47
	v_cndmask_b32_e64 v47, 0, 1, s[94:95]
	v_readlane_b32 s94, v252, 14
	v_readlane_b32 s95, v252, 15
	s_waitcnt vmcnt(0)
	v_xor_b32_e32 v76, vcc_lo, v48
	scratch_load_dwordx2 v[48:49], off, off offset:216 ; 8-byte Folded Reload
	v_cmp_ne_u32_e32 vcc, 0, v47
	v_and_b32_e32 v46, v46, v76
	s_waitcnt vmcnt(0)
	v_xor_b32_e32 v47, vcc_hi, v49
	scratch_load_dwordx2 v[48:49], off, off offset:32 ; 8-byte Folded Reload
	v_and_b32_e32 v37, v37, v47
	v_cndmask_b32_e64 v47, 0, 1, s[94:95]
	v_readlane_b32 s94, v252, 16
	v_readlane_b32 s95, v252, 17
	s_waitcnt vmcnt(0)
	v_xor_b32_e32 v76, vcc_lo, v48
	scratch_load_dwordx2 v[48:49], off, off offset:224 ; 8-byte Folded Reload
	v_cmp_ne_u32_e32 vcc, 0, v47
	v_and_b32_e32 v46, v46, v76
	s_waitcnt vmcnt(0)
	v_xor_b32_e32 v47, vcc_hi, v49
	scratch_load_dwordx2 v[48:49], off, off offset:40 ; 8-byte Folded Reload
	v_and_b32_e32 v37, v37, v47
	v_cndmask_b32_e64 v47, 0, 1, s[94:95]
	v_readlane_b32 s94, v252, 18
	v_readlane_b32 s95, v252, 19
	s_waitcnt vmcnt(0)
	v_xor_b32_e32 v76, vcc_lo, v48
	scratch_load_dwordx2 v[48:49], off, off offset:232 ; 8-byte Folded Reload
	v_cmp_ne_u32_e32 vcc, 0, v47
	v_and_b32_e32 v46, v46, v76
	s_waitcnt vmcnt(0)
	v_xor_b32_e32 v47, vcc_hi, v49
	scratch_load_dwordx2 v[48:49], off, off offset:48 ; 8-byte Folded Reload
	v_and_b32_e32 v37, v37, v47
	v_cndmask_b32_e64 v47, 0, 1, s[94:95]
	s_waitcnt vmcnt(0)
	v_xor_b32_e32 v76, vcc_lo, v48
	scratch_load_dwordx2 v[48:49], off, off offset:240 ; 8-byte Folded Reload
	v_cmp_ne_u32_e32 vcc, 0, v47
	v_and_b32_e32 v46, v46, v76
	s_waitcnt vmcnt(0)
	v_xor_b32_e32 v47, vcc_hi, v49
	scratch_load_dwordx2 v[48:49], off, off offset:56 ; 8-byte Folded Reload
	v_and_b32_e32 v37, v37, v47
	s_waitcnt vmcnt(0)
	v_xor_b32_e32 v76, vcc_lo, v48
	v_and_b32_e32 v46, v46, v76
	v_mbcnt_lo_u32_b32 v47, v46, 0
	v_mbcnt_hi_u32_b32 v47, v37, v47
	v_cmp_eq_u32_e32 vcc, 0, v47
	s_and_saveexec_b64 s[94:95], vcc
	s_cbranch_execz .LBB29_6
; %bb.5:                                ;   in Loop: Header=BB29_2 Depth=1
	v_bcnt_u32_b32 v46, v46, 0
	v_bcnt_u32_b32 v46, v37, v46
	scratch_load_dword v37, off, off offset:356 ; 4-byte Folded Reload
	v_mov_b32_e32 v47, v36
	s_waitcnt vmcnt(0)
	ds_add_u64 v37, v[46:47]
.LBB29_6:                               ;   in Loop: Header=BB29_2 Depth=1
	s_or_b64 exec, exec, s[94:95]
	scratch_load_dwordx2 v[48:49], off, off offset:248 ; 8-byte Folded Reload
	v_readlane_b32 s94, v252, 20
	v_cndmask_b32_e64 v37, 0, 1, s[60:61]
	v_readlane_b32 s95, v252, 21
	v_cmp_ne_u32_e32 vcc, 0, v37
	s_nop 0
	v_cndmask_b32_e64 v47, 0, 1, s[94:95]
	v_xor_b32_e32 v37, vcc_hi, v139
	v_xor_b32_e32 v46, vcc_lo, v138
	v_cmp_ne_u32_e32 vcc, 0, v47
	v_readlane_b32 s94, v252, 22
	v_and_b32_e32 v37, exec_hi, v37
	v_readlane_b32 s95, v252, 23
	v_and_b32_e32 v46, exec_lo, v46
	s_waitcnt vmcnt(0)
	v_xor_b32_e32 v47, vcc_hi, v49
	scratch_load_dwordx2 v[48:49], off, off offset:64 ; 8-byte Folded Reload
	v_and_b32_e32 v37, v37, v47
	v_cndmask_b32_e64 v47, 0, 1, s[94:95]
	v_readlane_b32 s94, v252, 24
	v_readlane_b32 s95, v252, 25
	s_waitcnt vmcnt(0)
	v_xor_b32_e32 v76, vcc_lo, v48
	scratch_load_dwordx2 v[48:49], off, off offset:256 ; 8-byte Folded Reload
	v_cmp_ne_u32_e32 vcc, 0, v47
	v_and_b32_e32 v46, v46, v76
	s_waitcnt vmcnt(0)
	v_xor_b32_e32 v47, vcc_hi, v49
	scratch_load_dwordx2 v[48:49], off, off offset:72 ; 8-byte Folded Reload
	v_and_b32_e32 v37, v37, v47
	v_cndmask_b32_e64 v47, 0, 1, s[94:95]
	v_readlane_b32 s94, v252, 26
	v_readlane_b32 s95, v252, 27
	s_waitcnt vmcnt(0)
	v_xor_b32_e32 v76, vcc_lo, v48
	scratch_load_dwordx2 v[48:49], off, off offset:264 ; 8-byte Folded Reload
	v_cmp_ne_u32_e32 vcc, 0, v47
	v_and_b32_e32 v46, v46, v76
	s_waitcnt vmcnt(0)
	v_xor_b32_e32 v47, vcc_hi, v49
	scratch_load_dwordx2 v[48:49], off, off offset:80 ; 8-byte Folded Reload
	v_and_b32_e32 v37, v37, v47
	v_cndmask_b32_e64 v47, 0, 1, s[94:95]
	v_readlane_b32 s94, v252, 28
	v_readlane_b32 s95, v252, 29
	s_waitcnt vmcnt(0)
	v_xor_b32_e32 v76, vcc_lo, v48
	scratch_load_dwordx2 v[48:49], off, off offset:272 ; 8-byte Folded Reload
	v_cmp_ne_u32_e32 vcc, 0, v47
	v_and_b32_e32 v46, v46, v76
	s_waitcnt vmcnt(0)
	v_xor_b32_e32 v47, vcc_hi, v49
	scratch_load_dwordx2 v[48:49], off, off offset:88 ; 8-byte Folded Reload
	v_and_b32_e32 v37, v37, v47
	v_cndmask_b32_e64 v47, 0, 1, s[94:95]
	v_readlane_b32 s94, v252, 30
	v_readlane_b32 s95, v252, 31
	s_waitcnt vmcnt(0)
	v_xor_b32_e32 v76, vcc_lo, v48
	scratch_load_dwordx2 v[48:49], off, off offset:280 ; 8-byte Folded Reload
	v_cmp_ne_u32_e32 vcc, 0, v47
	v_and_b32_e32 v46, v46, v76
	s_waitcnt vmcnt(0)
	v_xor_b32_e32 v47, vcc_hi, v49
	scratch_load_dwordx2 v[48:49], off, off offset:96 ; 8-byte Folded Reload
	v_and_b32_e32 v37, v37, v47
	v_cndmask_b32_e64 v47, 0, 1, s[94:95]
	v_readlane_b32 s94, v252, 32
	v_readlane_b32 s95, v252, 33
	s_waitcnt vmcnt(0)
	v_xor_b32_e32 v76, vcc_lo, v48
	scratch_load_dwordx2 v[48:49], off, off offset:288 ; 8-byte Folded Reload
	v_cmp_ne_u32_e32 vcc, 0, v47
	v_and_b32_e32 v46, v46, v76
	s_waitcnt vmcnt(0)
	v_xor_b32_e32 v47, vcc_hi, v49
	scratch_load_dwordx2 v[48:49], off, off offset:104 ; 8-byte Folded Reload
	v_and_b32_e32 v37, v37, v47
	v_cndmask_b32_e64 v47, 0, 1, s[94:95]
	v_readlane_b32 s94, v252, 34
	v_readlane_b32 s95, v252, 35
	s_waitcnt vmcnt(0)
	v_xor_b32_e32 v76, vcc_lo, v48
	scratch_load_dwordx2 v[48:49], off, off offset:296 ; 8-byte Folded Reload
	v_cmp_ne_u32_e32 vcc, 0, v47
	v_and_b32_e32 v46, v46, v76
	s_waitcnt vmcnt(0)
	v_xor_b32_e32 v47, vcc_hi, v49
	scratch_load_dwordx2 v[48:49], off, off offset:112 ; 8-byte Folded Reload
	v_and_b32_e32 v37, v37, v47
	v_cndmask_b32_e64 v47, 0, 1, s[94:95]
	s_waitcnt vmcnt(0)
	v_xor_b32_e32 v76, vcc_lo, v48
	scratch_load_dwordx2 v[48:49], off, off offset:304 ; 8-byte Folded Reload
	v_cmp_ne_u32_e32 vcc, 0, v47
	v_and_b32_e32 v46, v46, v76
	s_waitcnt vmcnt(0)
	v_xor_b32_e32 v47, vcc_hi, v49
	scratch_load_dwordx2 v[48:49], off, off offset:120 ; 8-byte Folded Reload
	v_and_b32_e32 v37, v37, v47
	s_waitcnt vmcnt(0)
	v_xor_b32_e32 v76, vcc_lo, v48
	v_and_b32_e32 v46, v46, v76
	v_mbcnt_lo_u32_b32 v47, v46, 0
	v_mbcnt_hi_u32_b32 v47, v37, v47
	v_cmp_eq_u32_e32 vcc, 0, v47
	s_and_saveexec_b64 s[94:95], vcc
	s_cbranch_execz .LBB29_8
; %bb.7:                                ;   in Loop: Header=BB29_2 Depth=1
	v_bcnt_u32_b32 v46, v46, 0
	v_bcnt_u32_b32 v46, v37, v46
	scratch_load_dword v37, off, off offset:360 ; 4-byte Folded Reload
	v_mov_b32_e32 v47, v36
	s_waitcnt vmcnt(0)
	ds_add_u64 v37, v[46:47]
.LBB29_8:                               ;   in Loop: Header=BB29_2 Depth=1
	s_or_b64 exec, exec, s[94:95]
	scratch_load_dwordx2 v[48:49], off, off offset:312 ; 8-byte Folded Reload
	v_readlane_b32 s94, v252, 36
	v_cndmask_b32_e64 v37, 0, 1, s[62:63]
	v_readlane_b32 s95, v252, 37
	v_cmp_ne_u32_e32 vcc, 0, v37
	s_nop 0
	v_cndmask_b32_e64 v47, 0, 1, s[94:95]
	v_xor_b32_e32 v37, vcc_hi, v31
	v_xor_b32_e32 v46, vcc_lo, v30
	v_cmp_ne_u32_e32 vcc, 0, v47
	v_readlane_b32 s94, v252, 38
	v_and_b32_e32 v37, exec_hi, v37
	v_readlane_b32 s95, v252, 39
	v_and_b32_e32 v46, exec_lo, v46
	s_waitcnt vmcnt(0)
	v_xor_b32_e32 v47, vcc_hi, v49
	scratch_load_dwordx2 v[48:49], off, off offset:128 ; 8-byte Folded Reload
	v_and_b32_e32 v37, v37, v47
	v_cndmask_b32_e64 v47, 0, 1, s[94:95]
	v_readlane_b32 s94, v252, 40
	v_readlane_b32 s95, v252, 41
	s_waitcnt vmcnt(0)
	v_xor_b32_e32 v76, vcc_lo, v48
	scratch_load_dwordx2 v[48:49], off, off offset:320 ; 8-byte Folded Reload
	v_cmp_ne_u32_e32 vcc, 0, v47
	v_and_b32_e32 v46, v46, v76
	s_waitcnt vmcnt(0)
	v_xor_b32_e32 v47, vcc_hi, v49
	scratch_load_dwordx2 v[48:49], off, off offset:136 ; 8-byte Folded Reload
	v_and_b32_e32 v37, v37, v47
	v_cndmask_b32_e64 v47, 0, 1, s[94:95]
	v_readlane_b32 s94, v252, 42
	v_readlane_b32 s95, v252, 43
	s_waitcnt vmcnt(0)
	v_xor_b32_e32 v76, vcc_lo, v48
	scratch_load_dwordx2 v[48:49], off, off offset:328 ; 8-byte Folded Reload
	v_cmp_ne_u32_e32 vcc, 0, v47
	v_and_b32_e32 v46, v46, v76
	;; [unrolled: 12-line block ×5, first 2 shown]
	s_nop 0
	v_xor_b32_e32 v47, vcc_hi, v51
	v_and_b32_e32 v37, v37, v47
	v_cndmask_b32_e64 v47, 0, 1, s[94:95]
	v_readlane_b32 s94, v252, 50
	v_readlane_b32 s95, v252, 51
	s_waitcnt vmcnt(0)
	v_xor_b32_e32 v76, vcc_lo, v48
	scratch_load_dwordx2 v[48:49], off, off offset:176 ; 8-byte Folded Reload
	v_cmp_ne_u32_e32 vcc, 0, v47
	v_and_b32_e32 v46, v46, v76
	s_nop 0
	v_xor_b32_e32 v47, vcc_hi, v53
	v_and_b32_e32 v37, v37, v47
	v_cndmask_b32_e64 v47, 0, 1, s[94:95]
	s_waitcnt vmcnt(0)
	v_xor_b32_e32 v76, vcc_lo, v48
	v_cmp_ne_u32_e32 vcc, 0, v47
	v_and_b32_e32 v46, v46, v76
	s_nop 0
	v_xor_b32_e32 v76, vcc_lo, v84
	v_xor_b32_e32 v47, vcc_hi, v55
	v_and_b32_e32 v46, v46, v76
	v_and_b32_e32 v37, v37, v47
	v_mbcnt_lo_u32_b32 v47, v46, 0
	v_mbcnt_hi_u32_b32 v47, v37, v47
	v_cmp_eq_u32_e32 vcc, 0, v47
	s_and_saveexec_b64 s[94:95], vcc
	s_cbranch_execz .LBB29_10
; %bb.9:                                ;   in Loop: Header=BB29_2 Depth=1
	v_bcnt_u32_b32 v46, v46, 0
	v_bcnt_u32_b32 v46, v37, v46
	scratch_load_dword v37, off, off offset:364 ; 4-byte Folded Reload
	v_mov_b32_e32 v47, v36
	s_waitcnt vmcnt(0)
	ds_add_u64 v37, v[46:47]
.LBB29_10:                              ;   in Loop: Header=BB29_2 Depth=1
	s_or_b64 exec, exec, s[94:95]
	v_readlane_b32 s94, v252, 52
	v_cndmask_b32_e64 v37, 0, 1, s[64:65]
	v_readlane_b32 s95, v252, 53
	v_cmp_ne_u32_e32 vcc, 0, v37
	s_nop 0
	v_cndmask_b32_e64 v47, 0, 1, s[94:95]
	v_xor_b32_e32 v37, vcc_hi, v143
	v_xor_b32_e32 v46, vcc_lo, v142
	v_cmp_ne_u32_e32 vcc, 0, v47
	v_readlane_b32 s94, v252, 54
	v_and_b32_e32 v37, exec_hi, v37
	v_xor_b32_e32 v47, vcc_hi, v57
	v_readlane_b32 s95, v252, 55
	v_and_b32_e32 v37, v37, v47
	v_xor_b32_e32 v76, vcc_lo, v86
	v_cndmask_b32_e64 v47, 0, 1, s[94:95]
	v_cmp_ne_u32_e32 vcc, 0, v47
	v_readlane_b32 s94, v252, 56
	v_readlane_b32 s95, v252, 57
	v_xor_b32_e32 v47, vcc_hi, v59
	v_and_b32_e32 v46, exec_lo, v46
	v_and_b32_e32 v37, v37, v47
	v_cndmask_b32_e64 v47, 0, 1, s[94:95]
	v_and_b32_e32 v46, v46, v76
	v_xor_b32_e32 v76, vcc_lo, v88
	v_cmp_ne_u32_e32 vcc, 0, v47
	v_readlane_b32 s94, v252, 58
	v_readlane_b32 s95, v252, 59
	v_xor_b32_e32 v47, vcc_hi, v61
	v_and_b32_e32 v37, v37, v47
	v_cndmask_b32_e64 v47, 0, 1, s[94:95]
	v_and_b32_e32 v46, v46, v76
	v_xor_b32_e32 v76, vcc_lo, v90
	v_cmp_ne_u32_e32 vcc, 0, v47
	v_readlane_b32 s94, v252, 60
	v_readlane_b32 s95, v252, 61
	v_xor_b32_e32 v47, vcc_hi, v63
	;; [unrolled: 8-line block ×5, first 2 shown]
	v_and_b32_e32 v37, v37, v47
	v_cndmask_b32_e64 v47, 0, 1, s[94:95]
	v_and_b32_e32 v46, v46, v76
	v_xor_b32_e32 v76, vcc_lo, v98
	v_cmp_ne_u32_e32 vcc, 0, v47
	v_and_b32_e32 v46, v46, v76
	s_nop 0
	v_xor_b32_e32 v76, vcc_lo, v100
	v_xor_b32_e32 v47, vcc_hi, v71
	v_and_b32_e32 v46, v46, v76
	v_and_b32_e32 v37, v37, v47
	v_mbcnt_lo_u32_b32 v47, v46, 0
	v_mbcnt_hi_u32_b32 v47, v37, v47
	v_cmp_eq_u32_e32 vcc, 0, v47
	s_and_saveexec_b64 s[94:95], vcc
	s_cbranch_execz .LBB29_12
; %bb.11:                               ;   in Loop: Header=BB29_2 Depth=1
	v_bcnt_u32_b32 v46, v46, 0
	v_bcnt_u32_b32 v46, v37, v46
	scratch_load_dword v37, off, off offset:368 ; 4-byte Folded Reload
	v_mov_b32_e32 v47, v36
	s_waitcnt vmcnt(0)
	ds_add_u64 v37, v[46:47]
.LBB29_12:                              ;   in Loop: Header=BB29_2 Depth=1
	s_or_b64 exec, exec, s[94:95]
	v_readlane_b32 s94, v253, 4
	v_cndmask_b32_e64 v37, 0, 1, s[66:67]
	v_readlane_b32 s95, v253, 5
	v_cmp_ne_u32_e32 vcc, 0, v37
	s_nop 0
	v_cndmask_b32_e64 v47, 0, 1, s[94:95]
	v_xor_b32_e32 v37, vcc_hi, v147
	v_xor_b32_e32 v46, vcc_lo, v146
	v_cmp_ne_u32_e32 vcc, 0, v47
	v_readlane_b32 s94, v253, 6
	v_and_b32_e32 v37, exec_hi, v37
	v_xor_b32_e32 v47, vcc_hi, v73
	v_readlane_b32 s95, v253, 7
	v_and_b32_e32 v37, v37, v47
	v_xor_b32_e32 v76, vcc_lo, v102
	v_cndmask_b32_e64 v47, 0, 1, s[94:95]
	v_cmp_ne_u32_e32 vcc, 0, v47
	v_readlane_b32 s94, v253, 8
	v_readlane_b32 s95, v253, 9
	v_xor_b32_e32 v47, vcc_hi, v75
	v_and_b32_e32 v46, exec_lo, v46
	v_and_b32_e32 v37, v37, v47
	v_cndmask_b32_e64 v47, 0, 1, s[94:95]
	v_and_b32_e32 v46, v46, v76
	v_xor_b32_e32 v76, vcc_lo, v104
	v_cmp_ne_u32_e32 vcc, 0, v47
	v_readlane_b32 s94, v253, 10
	v_readlane_b32 s95, v253, 11
	v_xor_b32_e32 v47, vcc_hi, v77
	v_and_b32_e32 v37, v37, v47
	v_cndmask_b32_e64 v47, 0, 1, s[94:95]
	v_and_b32_e32 v46, v46, v76
	v_xor_b32_e32 v76, vcc_lo, v106
	v_cmp_ne_u32_e32 vcc, 0, v47
	v_readlane_b32 s94, v253, 12
	v_readlane_b32 s95, v253, 13
	v_xor_b32_e32 v47, vcc_hi, v79
	;; [unrolled: 8-line block ×5, first 2 shown]
	v_and_b32_e32 v37, v37, v47
	v_cndmask_b32_e64 v47, 0, 1, s[94:95]
	v_and_b32_e32 v46, v46, v76
	v_xor_b32_e32 v76, vcc_lo, v114
	v_cmp_ne_u32_e32 vcc, 0, v47
	v_and_b32_e32 v46, v46, v76
	s_nop 0
	v_xor_b32_e32 v76, vcc_lo, v116
	v_xor_b32_e32 v47, vcc_hi, v87
	v_and_b32_e32 v46, v46, v76
	v_and_b32_e32 v37, v37, v47
	v_mbcnt_lo_u32_b32 v47, v46, 0
	v_mbcnt_hi_u32_b32 v47, v37, v47
	v_cmp_eq_u32_e32 vcc, 0, v47
	s_and_saveexec_b64 s[94:95], vcc
	s_cbranch_execz .LBB29_14
; %bb.13:                               ;   in Loop: Header=BB29_2 Depth=1
	v_bcnt_u32_b32 v46, v46, 0
	v_bcnt_u32_b32 v46, v37, v46
	scratch_load_dword v37, off, off offset:372 ; 4-byte Folded Reload
	v_mov_b32_e32 v47, v36
	s_waitcnt vmcnt(0)
	ds_add_u64 v37, v[46:47]
.LBB29_14:                              ;   in Loop: Header=BB29_2 Depth=1
	s_or_b64 exec, exec, s[94:95]
	v_readlane_b32 s94, v253, 20
	v_cndmask_b32_e64 v37, 0, 1, s[68:69]
	v_readlane_b32 s95, v253, 21
	v_cmp_ne_u32_e32 vcc, 0, v37
	s_nop 0
	v_cndmask_b32_e64 v47, 0, 1, s[94:95]
	v_xor_b32_e32 v37, vcc_hi, v141
	v_xor_b32_e32 v46, vcc_lo, v140
	v_cmp_ne_u32_e32 vcc, 0, v47
	v_readlane_b32 s94, v253, 22
	v_and_b32_e32 v37, exec_hi, v37
	v_xor_b32_e32 v47, vcc_hi, v89
	v_readlane_b32 s95, v253, 23
	v_and_b32_e32 v37, v37, v47
	v_xor_b32_e32 v76, vcc_lo, v118
	v_cndmask_b32_e64 v47, 0, 1, s[94:95]
	v_cmp_ne_u32_e32 vcc, 0, v47
	v_readlane_b32 s94, v253, 24
	v_readlane_b32 s95, v253, 25
	v_xor_b32_e32 v47, vcc_hi, v91
	v_and_b32_e32 v46, exec_lo, v46
	v_and_b32_e32 v37, v37, v47
	v_cndmask_b32_e64 v47, 0, 1, s[94:95]
	v_and_b32_e32 v46, v46, v76
	v_xor_b32_e32 v76, vcc_lo, v120
	v_cmp_ne_u32_e32 vcc, 0, v47
	v_readlane_b32 s94, v253, 26
	v_readlane_b32 s95, v253, 27
	v_xor_b32_e32 v47, vcc_hi, v93
	v_and_b32_e32 v37, v37, v47
	v_cndmask_b32_e64 v47, 0, 1, s[94:95]
	v_and_b32_e32 v46, v46, v76
	v_xor_b32_e32 v76, vcc_lo, v122
	v_cmp_ne_u32_e32 vcc, 0, v47
	v_readlane_b32 s94, v253, 28
	v_readlane_b32 s95, v253, 29
	v_xor_b32_e32 v47, vcc_hi, v95
	;; [unrolled: 8-line block ×5, first 2 shown]
	v_and_b32_e32 v37, v37, v47
	v_cndmask_b32_e64 v47, 0, 1, s[94:95]
	v_and_b32_e32 v46, v46, v76
	v_xor_b32_e32 v76, vcc_lo, v130
	v_cmp_ne_u32_e32 vcc, 0, v47
	v_and_b32_e32 v46, v46, v76
	s_nop 0
	v_xor_b32_e32 v76, vcc_lo, v132
	v_xor_b32_e32 v47, vcc_hi, v103
	v_and_b32_e32 v46, v46, v76
	v_and_b32_e32 v37, v37, v47
	v_mbcnt_lo_u32_b32 v47, v46, 0
	v_mbcnt_hi_u32_b32 v47, v37, v47
	v_cmp_eq_u32_e32 vcc, 0, v47
	s_and_saveexec_b64 s[94:95], vcc
	s_cbranch_execz .LBB29_16
; %bb.15:                               ;   in Loop: Header=BB29_2 Depth=1
	v_bcnt_u32_b32 v46, v46, 0
	v_bcnt_u32_b32 v46, v37, v46
	scratch_load_dword v37, off, off offset:376 ; 4-byte Folded Reload
	v_mov_b32_e32 v47, v36
	s_waitcnt vmcnt(0)
	ds_add_u64 v37, v[46:47]
.LBB29_16:                              ;   in Loop: Header=BB29_2 Depth=1
	s_or_b64 exec, exec, s[94:95]
	v_readlane_b32 s94, v253, 36
	v_cndmask_b32_e64 v37, 0, 1, s[70:71]
	v_readlane_b32 s95, v253, 37
	v_cmp_ne_u32_e32 vcc, 0, v37
	v_mov_b32_e32 v10, v50
	v_cndmask_b32_e64 v47, 0, 1, s[94:95]
	v_xor_b32_e32 v37, vcc_hi, v33
	v_xor_b32_e32 v46, vcc_lo, v32
	v_cmp_ne_u32_e32 vcc, 0, v47
	v_readlane_b32 s94, v253, 38
	v_and_b32_e32 v37, exec_hi, v37
	v_xor_b32_e32 v47, vcc_hi, v105
	v_readlane_b32 s95, v253, 39
	v_and_b32_e32 v37, v37, v47
	v_xor_b32_e32 v76, vcc_lo, v2
	v_cndmask_b32_e64 v47, 0, 1, s[94:95]
	v_cmp_ne_u32_e32 vcc, 0, v47
	v_readlane_b32 s94, v253, 40
	v_readlane_b32 s95, v253, 41
	v_xor_b32_e32 v47, vcc_hi, v107
	v_and_b32_e32 v46, exec_lo, v46
	v_and_b32_e32 v37, v37, v47
	v_cndmask_b32_e64 v47, 0, 1, s[94:95]
	v_and_b32_e32 v46, v46, v76
	v_xor_b32_e32 v76, vcc_lo, v4
	v_cmp_ne_u32_e32 vcc, 0, v47
	v_readlane_b32 s94, v253, 42
	v_readlane_b32 s95, v253, 43
	v_xor_b32_e32 v47, vcc_hi, v109
	v_and_b32_e32 v37, v37, v47
	v_cndmask_b32_e64 v47, 0, 1, s[94:95]
	v_and_b32_e32 v46, v46, v76
	v_xor_b32_e32 v76, vcc_lo, v6
	v_cmp_ne_u32_e32 vcc, 0, v47
	v_readlane_b32 s94, v253, 44
	v_readlane_b32 s95, v253, 45
	v_xor_b32_e32 v47, vcc_hi, v111
	;; [unrolled: 8-line block ×4, first 2 shown]
	v_mov_b32_e32 v10, v58
	v_and_b32_e32 v37, v37, v47
	v_cndmask_b32_e64 v47, 0, 1, s[94:95]
	v_and_b32_e32 v46, v46, v76
	v_xor_b32_e32 v76, vcc_lo, v10
	v_cmp_ne_u32_e32 vcc, 0, v47
	v_readlane_b32 s94, v253, 50
	v_readlane_b32 s95, v253, 51
	v_xor_b32_e32 v47, vcc_hi, v117
	v_mov_b32_e32 v10, v68
	v_and_b32_e32 v37, v37, v47
	v_cndmask_b32_e64 v47, 0, 1, s[94:95]
	v_and_b32_e32 v46, v46, v76
	v_xor_b32_e32 v76, vcc_lo, v10
	v_cmp_ne_u32_e32 vcc, 0, v47
	v_mov_b32_e32 v10, v54
	v_and_b32_e32 v46, v46, v76
	v_xor_b32_e32 v76, vcc_lo, v10
	v_xor_b32_e32 v47, vcc_hi, v119
	v_and_b32_e32 v46, v46, v76
	v_and_b32_e32 v37, v37, v47
	v_mbcnt_lo_u32_b32 v47, v46, 0
	v_mbcnt_hi_u32_b32 v47, v37, v47
	v_cmp_eq_u32_e32 vcc, 0, v47
	s_and_saveexec_b64 s[94:95], vcc
	s_cbranch_execz .LBB29_18
; %bb.17:                               ;   in Loop: Header=BB29_2 Depth=1
	v_bcnt_u32_b32 v46, v46, 0
	v_bcnt_u32_b32 v46, v37, v46
	scratch_load_dword v37, off, off offset:380 ; 4-byte Folded Reload
	v_mov_b32_e32 v47, v36
	s_waitcnt vmcnt(0)
	ds_add_u64 v37, v[46:47]
.LBB29_18:                              ;   in Loop: Header=BB29_2 Depth=1
	s_or_b64 exec, exec, s[94:95]
	v_readlane_b32 s94, v253, 52
	v_cndmask_b32_e64 v37, 0, 1, s[72:73]
	v_readlane_b32 s95, v253, 53
	v_cmp_ne_u32_e32 vcc, 0, v37
	v_mov_b32_e32 v10, v70
	v_cndmask_b32_e64 v47, 0, 1, s[94:95]
	v_xor_b32_e32 v37, vcc_hi, v145
	v_xor_b32_e32 v46, vcc_lo, v144
	v_cmp_ne_u32_e32 vcc, 0, v47
	v_readlane_b32 s94, v253, 54
	v_and_b32_e32 v37, exec_hi, v37
	v_xor_b32_e32 v47, vcc_hi, v121
	v_readlane_b32 s95, v253, 55
	v_and_b32_e32 v37, v37, v47
	v_xor_b32_e32 v76, vcc_lo, v10
	v_cndmask_b32_e64 v47, 0, 1, s[94:95]
	v_cmp_ne_u32_e32 vcc, 0, v47
	v_readlane_b32 s94, v253, 56
	v_readlane_b32 s95, v253, 57
	v_xor_b32_e32 v47, vcc_hi, v123
	v_and_b32_e32 v46, exec_lo, v46
	v_mov_b32_e32 v10, v60
	v_and_b32_e32 v37, v37, v47
	v_cndmask_b32_e64 v47, 0, 1, s[94:95]
	v_and_b32_e32 v46, v46, v76
	v_xor_b32_e32 v76, vcc_lo, v10
	v_cmp_ne_u32_e32 vcc, 0, v47
	v_readlane_b32 s94, v253, 58
	v_readlane_b32 s95, v253, 59
	v_xor_b32_e32 v47, vcc_hi, v125
	v_mov_b32_e32 v10, v72
	v_and_b32_e32 v37, v37, v47
	v_cndmask_b32_e64 v47, 0, 1, s[94:95]
	v_and_b32_e32 v46, v46, v76
	v_xor_b32_e32 v76, vcc_lo, v10
	v_cmp_ne_u32_e32 vcc, 0, v47
	v_readlane_b32 s94, v253, 60
	v_readlane_b32 s95, v253, 61
	v_xor_b32_e32 v47, vcc_hi, v127
	;; [unrolled: 9-line block ×4, first 2 shown]
	v_and_b32_e32 v37, v37, v47
	v_cndmask_b32_e64 v47, 0, 1, s[94:95]
	v_and_b32_e32 v46, v46, v76
	v_xor_b32_e32 v76, vcc_lo, v134
	v_cmp_ne_u32_e32 vcc, 0, v47
	v_readlane_b32 s94, v254, 2
	v_readlane_b32 s95, v254, 3
	v_xor_b32_e32 v47, vcc_hi, v133
	v_and_b32_e32 v37, v37, v47
	v_cndmask_b32_e64 v47, 0, 1, s[94:95]
	v_and_b32_e32 v46, v46, v76
	v_xor_b32_e32 v76, vcc_lo, v136
	v_cmp_ne_u32_e32 vcc, 0, v47
	v_and_b32_e32 v46, v46, v76
	s_nop 0
	v_xor_b32_e32 v76, vcc_lo, v148
	v_xor_b32_e32 v47, vcc_hi, v135
	v_and_b32_e32 v46, v46, v76
	v_and_b32_e32 v37, v37, v47
	v_mbcnt_lo_u32_b32 v47, v46, 0
	v_mbcnt_hi_u32_b32 v47, v37, v47
	v_cmp_eq_u32_e32 vcc, 0, v47
	s_and_saveexec_b64 s[94:95], vcc
	s_cbranch_execz .LBB29_20
; %bb.19:                               ;   in Loop: Header=BB29_2 Depth=1
	v_bcnt_u32_b32 v46, v46, 0
	v_bcnt_u32_b32 v46, v37, v46
	scratch_load_dword v37, off, off offset:384 ; 4-byte Folded Reload
	v_mov_b32_e32 v47, v36
	s_waitcnt vmcnt(0)
	ds_add_u64 v37, v[46:47]
.LBB29_20:                              ;   in Loop: Header=BB29_2 Depth=1
	s_or_b64 exec, exec, s[94:95]
	v_readlane_b32 s94, v254, 4
	v_cndmask_b32_e64 v37, 0, 1, s[74:75]
	v_readlane_b32 s95, v254, 5
	v_cmp_ne_u32_e32 vcc, 0, v37
	s_nop 0
	v_cndmask_b32_e64 v47, 0, 1, s[94:95]
	v_xor_b32_e32 v37, vcc_hi, v151
	v_xor_b32_e32 v46, vcc_lo, v150
	v_cmp_ne_u32_e32 vcc, 0, v47
	v_readlane_b32 s94, v254, 6
	v_and_b32_e32 v37, exec_hi, v37
	v_xor_b32_e32 v47, vcc_hi, v137
	v_readlane_b32 s95, v254, 7
	v_and_b32_e32 v37, v37, v47
	v_xor_b32_e32 v76, vcc_lo, v152
	v_cndmask_b32_e64 v47, 0, 1, s[94:95]
	v_cmp_ne_u32_e32 vcc, 0, v47
	v_readlane_b32 s94, v254, 8
	v_readlane_b32 s95, v254, 9
	v_xor_b32_e32 v47, vcc_hi, v149
	v_and_b32_e32 v46, exec_lo, v46
	v_and_b32_e32 v37, v37, v47
	v_cndmask_b32_e64 v47, 0, 1, s[94:95]
	v_and_b32_e32 v46, v46, v76
	v_xor_b32_e32 v76, vcc_lo, v154
	v_cmp_ne_u32_e32 vcc, 0, v47
	v_readlane_b32 s94, v254, 10
	v_readlane_b32 s95, v254, 11
	v_xor_b32_e32 v47, vcc_hi, v153
	v_and_b32_e32 v37, v37, v47
	v_cndmask_b32_e64 v47, 0, 1, s[94:95]
	v_and_b32_e32 v46, v46, v76
	v_xor_b32_e32 v76, vcc_lo, v156
	v_cmp_ne_u32_e32 vcc, 0, v47
	v_readlane_b32 s94, v254, 12
	v_readlane_b32 s95, v254, 13
	v_xor_b32_e32 v47, vcc_hi, v155
	;; [unrolled: 8-line block ×5, first 2 shown]
	v_and_b32_e32 v37, v37, v47
	v_cndmask_b32_e64 v47, 0, 1, s[94:95]
	v_and_b32_e32 v46, v46, v76
	v_xor_b32_e32 v76, vcc_lo, v164
	v_cmp_ne_u32_e32 vcc, 0, v47
	v_and_b32_e32 v46, v46, v76
	s_nop 0
	v_xor_b32_e32 v76, vcc_lo, v0
	v_xor_b32_e32 v47, vcc_hi, v163
	v_and_b32_e32 v46, v46, v76
	v_and_b32_e32 v37, v37, v47
	v_mbcnt_lo_u32_b32 v47, v46, 0
	v_mbcnt_hi_u32_b32 v47, v37, v47
	v_cmp_eq_u32_e32 vcc, 0, v47
	s_and_saveexec_b64 s[94:95], vcc
	s_cbranch_execz .LBB29_22
; %bb.21:                               ;   in Loop: Header=BB29_2 Depth=1
	v_bcnt_u32_b32 v46, v46, 0
	v_bcnt_u32_b32 v46, v37, v46
	scratch_load_dword v37, off, off offset:388 ; 4-byte Folded Reload
	v_mov_b32_e32 v47, v36
	s_waitcnt vmcnt(0)
	ds_add_u64 v37, v[46:47]
.LBB29_22:                              ;   in Loop: Header=BB29_2 Depth=1
	s_or_b64 exec, exec, s[94:95]
	v_readlane_b32 s94, v254, 20
	v_cndmask_b32_e64 v37, 0, 1, s[76:77]
	v_readlane_b32 s95, v254, 21
	v_cmp_ne_u32_e32 vcc, 0, v37
	s_nop 0
	v_cndmask_b32_e64 v47, 0, 1, s[94:95]
	v_xor_b32_e32 v37, vcc_hi, v167
	v_xor_b32_e32 v46, vcc_lo, v166
	v_cmp_ne_u32_e32 vcc, 0, v47
	v_readlane_b32 s94, v254, 22
	v_and_b32_e32 v37, exec_hi, v37
	v_xor_b32_e32 v47, vcc_hi, v165
	v_readlane_b32 s95, v254, 23
	v_and_b32_e32 v37, v37, v47
	v_xor_b32_e32 v76, vcc_lo, v180
	v_cndmask_b32_e64 v47, 0, 1, s[94:95]
	v_cmp_ne_u32_e32 vcc, 0, v47
	v_readlane_b32 s94, v254, 24
	v_readlane_b32 s95, v254, 25
	v_xor_b32_e32 v47, vcc_hi, v181
	v_and_b32_e32 v46, exec_lo, v46
	v_and_b32_e32 v37, v37, v47
	v_cndmask_b32_e64 v47, 0, 1, s[94:95]
	v_and_b32_e32 v46, v46, v76
	v_xor_b32_e32 v76, vcc_lo, v182
	v_cmp_ne_u32_e32 vcc, 0, v47
	v_readlane_b32 s94, v254, 26
	v_readlane_b32 s95, v254, 27
	v_xor_b32_e32 v47, vcc_hi, v183
	v_and_b32_e32 v37, v37, v47
	v_cndmask_b32_e64 v47, 0, 1, s[94:95]
	v_and_b32_e32 v46, v46, v76
	v_xor_b32_e32 v76, vcc_lo, v184
	v_cmp_ne_u32_e32 vcc, 0, v47
	v_readlane_b32 s94, v254, 28
	v_readlane_b32 s95, v254, 29
	v_xor_b32_e32 v47, vcc_hi, v185
	;; [unrolled: 8-line block ×5, first 2 shown]
	v_and_b32_e32 v37, v37, v47
	v_cndmask_b32_e64 v47, 0, 1, s[94:95]
	v_and_b32_e32 v46, v46, v76
	v_xor_b32_e32 v76, vcc_lo, v192
	v_cmp_ne_u32_e32 vcc, 0, v47
	v_and_b32_e32 v46, v46, v76
	s_nop 0
	v_xor_b32_e32 v76, vcc_lo, v194
	v_xor_b32_e32 v47, vcc_hi, v193
	v_and_b32_e32 v46, v46, v76
	v_and_b32_e32 v37, v37, v47
	v_mbcnt_lo_u32_b32 v47, v46, 0
	v_mbcnt_hi_u32_b32 v47, v37, v47
	v_cmp_eq_u32_e32 vcc, 0, v47
	s_and_saveexec_b64 s[94:95], vcc
	s_cbranch_execz .LBB29_24
; %bb.23:                               ;   in Loop: Header=BB29_2 Depth=1
	v_bcnt_u32_b32 v46, v46, 0
	v_bcnt_u32_b32 v46, v37, v46
	scratch_load_dword v37, off, off offset:392 ; 4-byte Folded Reload
	v_mov_b32_e32 v47, v36
	s_waitcnt vmcnt(0)
	ds_add_u64 v37, v[46:47]
.LBB29_24:                              ;   in Loop: Header=BB29_2 Depth=1
	s_or_b64 exec, exec, s[94:95]
	v_readlane_b32 s94, v254, 36
	v_cndmask_b32_e64 v37, 0, 1, s[78:79]
	v_readlane_b32 s95, v254, 37
	v_cmp_ne_u32_e32 vcc, 0, v37
	s_nop 0
	v_cndmask_b32_e64 v47, 0, 1, s[94:95]
	v_xor_b32_e32 v37, vcc_hi, v169
	v_xor_b32_e32 v46, vcc_lo, v168
	v_cmp_ne_u32_e32 vcc, 0, v47
	v_readlane_b32 s94, v254, 38
	v_and_b32_e32 v37, exec_hi, v37
	v_xor_b32_e32 v47, vcc_hi, v195
	v_readlane_b32 s95, v254, 39
	v_and_b32_e32 v37, v37, v47
	v_xor_b32_e32 v76, vcc_lo, v196
	v_cndmask_b32_e64 v47, 0, 1, s[94:95]
	v_cmp_ne_u32_e32 vcc, 0, v47
	v_readlane_b32 s94, v254, 40
	v_readlane_b32 s95, v254, 41
	v_xor_b32_e32 v47, vcc_hi, v197
	v_and_b32_e32 v46, exec_lo, v46
	v_and_b32_e32 v37, v37, v47
	v_cndmask_b32_e64 v47, 0, 1, s[94:95]
	v_and_b32_e32 v46, v46, v76
	v_xor_b32_e32 v76, vcc_lo, v198
	v_cmp_ne_u32_e32 vcc, 0, v47
	v_readlane_b32 s94, v254, 42
	v_readlane_b32 s95, v254, 43
	v_xor_b32_e32 v47, vcc_hi, v199
	v_and_b32_e32 v37, v37, v47
	v_cndmask_b32_e64 v47, 0, 1, s[94:95]
	v_and_b32_e32 v46, v46, v76
	v_xor_b32_e32 v76, vcc_lo, v200
	v_cmp_ne_u32_e32 vcc, 0, v47
	v_readlane_b32 s94, v254, 44
	v_readlane_b32 s95, v254, 45
	v_xor_b32_e32 v47, vcc_hi, v201
	;; [unrolled: 8-line block ×5, first 2 shown]
	v_and_b32_e32 v37, v37, v47
	v_cndmask_b32_e64 v47, 0, 1, s[94:95]
	v_and_b32_e32 v46, v46, v76
	v_xor_b32_e32 v76, vcc_lo, v208
	v_cmp_ne_u32_e32 vcc, 0, v47
	v_and_b32_e32 v46, v46, v76
	s_nop 0
	v_xor_b32_e32 v76, vcc_lo, v210
	v_xor_b32_e32 v47, vcc_hi, v209
	v_and_b32_e32 v46, v46, v76
	v_and_b32_e32 v37, v37, v47
	v_mbcnt_lo_u32_b32 v47, v46, 0
	v_mbcnt_hi_u32_b32 v47, v37, v47
	v_cmp_eq_u32_e32 vcc, 0, v47
	s_and_saveexec_b64 s[94:95], vcc
	s_cbranch_execz .LBB29_26
; %bb.25:                               ;   in Loop: Header=BB29_2 Depth=1
	v_bcnt_u32_b32 v46, v46, 0
	v_bcnt_u32_b32 v46, v37, v46
	scratch_load_dword v37, off, off offset:396 ; 4-byte Folded Reload
	v_mov_b32_e32 v47, v36
	s_waitcnt vmcnt(0)
	ds_add_u64 v37, v[46:47]
.LBB29_26:                              ;   in Loop: Header=BB29_2 Depth=1
	s_or_b64 exec, exec, s[94:95]
	v_readlane_b32 s94, v254, 52
	v_cndmask_b32_e64 v37, 0, 1, s[80:81]
	v_readlane_b32 s95, v254, 53
	v_cmp_ne_u32_e32 vcc, 0, v37
	s_nop 0
	v_cndmask_b32_e64 v47, 0, 1, s[94:95]
	v_xor_b32_e32 v37, vcc_hi, v171
	v_xor_b32_e32 v46, vcc_lo, v170
	v_cmp_ne_u32_e32 vcc, 0, v47
	v_readlane_b32 s94, v254, 54
	v_and_b32_e32 v37, exec_hi, v37
	v_xor_b32_e32 v47, vcc_hi, v211
	v_readlane_b32 s95, v254, 55
	v_and_b32_e32 v37, v37, v47
	v_xor_b32_e32 v76, vcc_lo, v212
	v_cndmask_b32_e64 v47, 0, 1, s[94:95]
	v_cmp_ne_u32_e32 vcc, 0, v47
	v_readlane_b32 s94, v254, 56
	v_readlane_b32 s95, v254, 57
	v_xor_b32_e32 v47, vcc_hi, v213
	v_and_b32_e32 v46, exec_lo, v46
	v_and_b32_e32 v37, v37, v47
	v_cndmask_b32_e64 v47, 0, 1, s[94:95]
	v_and_b32_e32 v46, v46, v76
	v_xor_b32_e32 v76, vcc_lo, v214
	v_cmp_ne_u32_e32 vcc, 0, v47
	v_readlane_b32 s94, v254, 58
	v_readlane_b32 s95, v254, 59
	v_xor_b32_e32 v47, vcc_hi, v215
	v_and_b32_e32 v37, v37, v47
	v_cndmask_b32_e64 v47, 0, 1, s[94:95]
	v_and_b32_e32 v46, v46, v76
	v_xor_b32_e32 v76, vcc_lo, v216
	v_cmp_ne_u32_e32 vcc, 0, v47
	v_readlane_b32 s94, v254, 60
	v_readlane_b32 s95, v254, 61
	v_xor_b32_e32 v47, vcc_hi, v217
	;; [unrolled: 8-line block ×5, first 2 shown]
	v_and_b32_e32 v37, v37, v47
	v_cndmask_b32_e64 v47, 0, 1, s[94:95]
	v_and_b32_e32 v46, v46, v76
	v_xor_b32_e32 v76, vcc_lo, v224
	v_cmp_ne_u32_e32 vcc, 0, v47
	v_and_b32_e32 v46, v46, v76
	s_nop 0
	v_xor_b32_e32 v76, vcc_lo, v226
	v_xor_b32_e32 v47, vcc_hi, v225
	v_and_b32_e32 v46, v46, v76
	v_and_b32_e32 v37, v37, v47
	v_mbcnt_lo_u32_b32 v47, v46, 0
	v_mbcnt_hi_u32_b32 v47, v37, v47
	v_cmp_eq_u32_e32 vcc, 0, v47
	s_and_saveexec_b64 s[94:95], vcc
	s_cbranch_execz .LBB29_28
; %bb.27:                               ;   in Loop: Header=BB29_2 Depth=1
	v_bcnt_u32_b32 v46, v46, 0
	v_bcnt_u32_b32 v46, v37, v46
	scratch_load_dword v37, off, off offset:400 ; 4-byte Folded Reload
	v_mov_b32_e32 v47, v36
	s_waitcnt vmcnt(0)
	ds_add_u64 v37, v[46:47]
.LBB29_28:                              ;   in Loop: Header=BB29_2 Depth=1
	s_or_b64 exec, exec, s[94:95]
	v_readlane_b32 s94, v255, 4
	v_cndmask_b32_e64 v37, 0, 1, s[82:83]
	v_readlane_b32 s95, v255, 5
	v_cmp_ne_u32_e32 vcc, 0, v37
	s_nop 0
	v_cndmask_b32_e64 v47, 0, 1, s[94:95]
	v_xor_b32_e32 v37, vcc_hi, v173
	v_xor_b32_e32 v46, vcc_lo, v172
	v_cmp_ne_u32_e32 vcc, 0, v47
	v_and_b32_e32 v37, exec_hi, v37
	v_and_b32_e32 v46, exec_lo, v46
	v_xor_b32_e32 v47, vcc_hi, v227
	v_and_b32_e32 v37, v37, v47
	v_cndmask_b32_e64 v47, 0, 1, s[96:97]
	v_xor_b32_e32 v76, vcc_lo, v228
	v_cmp_ne_u32_e32 vcc, 0, v47
	v_and_b32_e32 v46, v46, v76
	s_nop 0
	v_xor_b32_e32 v47, vcc_hi, v229
	v_and_b32_e32 v37, v37, v47
	v_cndmask_b32_e64 v47, 0, 1, s[98:99]
	v_xor_b32_e32 v76, vcc_lo, v230
	v_cmp_ne_u32_e32 vcc, 0, v47
	v_and_b32_e32 v46, v46, v76
	s_nop 0
	;; [unrolled: 7-line block ×7, first 2 shown]
	v_xor_b32_e32 v76, vcc_lo, v242
	v_xor_b32_e32 v47, vcc_hi, v241
	v_and_b32_e32 v46, v46, v76
	v_and_b32_e32 v37, v37, v47
	v_mbcnt_lo_u32_b32 v47, v46, 0
	v_mbcnt_hi_u32_b32 v47, v37, v47
	v_cmp_eq_u32_e32 vcc, 0, v47
	s_and_saveexec_b64 s[94:95], vcc
	s_cbranch_execz .LBB29_30
; %bb.29:                               ;   in Loop: Header=BB29_2 Depth=1
	v_bcnt_u32_b32 v46, v46, 0
	v_bcnt_u32_b32 v46, v37, v46
	scratch_load_dword v37, off, off offset:404 ; 4-byte Folded Reload
	v_mov_b32_e32 v47, v36
	s_waitcnt vmcnt(0)
	ds_add_u64 v37, v[46:47]
.LBB29_30:                              ;   in Loop: Header=BB29_2 Depth=1
	s_or_b64 exec, exec, s[94:95]
	v_cndmask_b32_e64 v37, 0, 1, s[84:85]
	v_cmp_ne_u32_e32 vcc, 0, v37
	v_cndmask_b32_e64 v47, 0, 1, s[10:11]
	s_nop 0
	v_xor_b32_e32 v37, vcc_hi, v175
	v_xor_b32_e32 v46, vcc_lo, v174
	v_cmp_ne_u32_e32 vcc, 0, v47
	v_and_b32_e32 v37, exec_hi, v37
	v_and_b32_e32 v46, exec_lo, v46
	v_xor_b32_e32 v47, vcc_hi, v243
	v_and_b32_e32 v37, v37, v47
	v_cndmask_b32_e64 v47, 0, 1, s[12:13]
	v_xor_b32_e32 v76, vcc_lo, v244
	v_cmp_ne_u32_e32 vcc, 0, v47
	v_and_b32_e32 v46, v46, v76
	s_nop 0
	v_xor_b32_e32 v47, vcc_hi, v245
	v_and_b32_e32 v37, v37, v47
	v_cndmask_b32_e64 v47, 0, 1, s[14:15]
	v_xor_b32_e32 v76, vcc_lo, v246
	v_cmp_ne_u32_e32 vcc, 0, v47
	v_and_b32_e32 v46, v46, v76
	s_nop 0
	;; [unrolled: 7-line block ×7, first 2 shown]
	v_xor_b32_e32 v76, vcc_lo, v42
	v_xor_b32_e32 v47, vcc_hi, v5
	v_and_b32_e32 v46, v46, v76
	v_and_b32_e32 v37, v37, v47
	v_mbcnt_lo_u32_b32 v47, v46, 0
	v_mbcnt_hi_u32_b32 v47, v37, v47
	v_cmp_eq_u32_e32 vcc, 0, v47
	s_and_saveexec_b64 s[94:95], vcc
	s_cbranch_execz .LBB29_32
; %bb.31:                               ;   in Loop: Header=BB29_2 Depth=1
	v_bcnt_u32_b32 v46, v46, 0
	v_bcnt_u32_b32 v46, v37, v46
	scratch_load_dword v37, off, off offset:408 ; 4-byte Folded Reload
	v_mov_b32_e32 v47, v36
	s_waitcnt vmcnt(0)
	ds_add_u64 v37, v[46:47]
.LBB29_32:                              ;   in Loop: Header=BB29_2 Depth=1
	s_or_b64 exec, exec, s[94:95]
	v_cndmask_b32_e64 v37, 0, 1, s[86:87]
	v_cmp_ne_u32_e32 vcc, 0, v37
	v_cndmask_b32_e64 v47, 0, 1, s[26:27]
	v_mov_b32_e32 v48, v56
	v_xor_b32_e32 v37, vcc_hi, v177
	v_xor_b32_e32 v46, vcc_lo, v176
	v_cmp_ne_u32_e32 vcc, 0, v47
	v_and_b32_e32 v37, exec_hi, v37
	v_and_b32_e32 v46, exec_lo, v46
	v_xor_b32_e32 v47, vcc_hi, v7
	v_and_b32_e32 v37, v37, v47
	v_cndmask_b32_e64 v47, 0, 1, s[28:29]
	v_xor_b32_e32 v76, vcc_lo, v44
	v_cmp_ne_u32_e32 vcc, 0, v47
	v_and_b32_e32 v46, v46, v76
	v_mov_b32_e32 v10, v64
	v_xor_b32_e32 v47, vcc_hi, v9
	v_and_b32_e32 v37, v37, v47
	v_cndmask_b32_e64 v47, 0, 1, s[30:31]
	v_xor_b32_e32 v76, vcc_lo, v48
	v_cmp_ne_u32_e32 vcc, 0, v47
	v_and_b32_e32 v46, v46, v76
	s_nop 0
	v_xor_b32_e32 v47, vcc_hi, v11
	v_and_b32_e32 v37, v37, v47
	v_cndmask_b32_e64 v47, 0, 1, s[34:35]
	v_xor_b32_e32 v76, vcc_lo, v10
	v_cmp_ne_u32_e32 vcc, 0, v47
	v_mov_b32_e32 v10, v66
	v_and_b32_e32 v46, v46, v76
	v_xor_b32_e32 v47, vcc_hi, v13
	v_and_b32_e32 v37, v37, v47
	v_cndmask_b32_e64 v47, 0, 1, s[36:37]
	v_xor_b32_e32 v76, vcc_lo, v10
	v_cmp_ne_u32_e32 vcc, 0, v47
	v_mov_b32_e32 v10, v12
	v_and_b32_e32 v46, v46, v76
	;; [unrolled: 7-line block ×5, first 2 shown]
	v_xor_b32_e32 v76, vcc_lo, v10
	v_xor_b32_e32 v47, vcc_hi, v21
	v_and_b32_e32 v46, v46, v76
	v_and_b32_e32 v37, v37, v47
	v_mbcnt_lo_u32_b32 v47, v46, 0
	v_mbcnt_hi_u32_b32 v47, v37, v47
	v_cmp_eq_u32_e32 vcc, 0, v47
	s_and_saveexec_b64 s[94:95], vcc
	s_cbranch_execz .LBB29_34
; %bb.33:                               ;   in Loop: Header=BB29_2 Depth=1
	v_bcnt_u32_b32 v46, v46, 0
	v_bcnt_u32_b32 v46, v37, v46
	scratch_load_dword v37, off, off offset:412 ; 4-byte Folded Reload
	v_mov_b32_e32 v47, v36
	s_waitcnt vmcnt(0)
	ds_add_u64 v37, v[46:47]
.LBB29_34:                              ;   in Loop: Header=BB29_2 Depth=1
	s_or_b64 exec, exec, s[94:95]
	v_cndmask_b32_e64 v37, 0, 1, s[88:89]
	v_cmp_ne_u32_e32 vcc, 0, v37
	v_cndmask_b32_e64 v47, 0, 1, s[44:45]
	v_mov_b32_e32 v10, v20
	v_xor_b32_e32 v37, vcc_hi, v179
	v_xor_b32_e32 v46, vcc_lo, v178
	v_cmp_ne_u32_e32 vcc, 0, v47
	v_and_b32_e32 v37, exec_hi, v37
	v_and_b32_e32 v46, exec_lo, v46
	v_xor_b32_e32 v47, vcc_hi, v23
	v_and_b32_e32 v37, v37, v47
	v_cndmask_b32_e64 v47, 0, 1, s[46:47]
	v_xor_b32_e32 v76, vcc_lo, v10
	v_cmp_ne_u32_e32 vcc, 0, v47
	v_mov_b32_e32 v10, v22
	v_and_b32_e32 v46, v46, v76
	v_xor_b32_e32 v47, vcc_hi, v25
	v_and_b32_e32 v37, v37, v47
	v_cndmask_b32_e64 v47, 0, 1, s[48:49]
	v_xor_b32_e32 v76, vcc_lo, v10
	v_cmp_ne_u32_e32 vcc, 0, v47
	v_mov_b32_e32 v10, v24
	v_and_b32_e32 v46, v46, v76
	;; [unrolled: 7-line block ×7, first 2 shown]
	v_xor_b32_e32 v76, vcc_lo, v10
	v_xor_b32_e32 v47, vcc_hi, v45
	v_and_b32_e32 v46, v46, v76
	v_and_b32_e32 v37, v37, v47
	v_mbcnt_lo_u32_b32 v47, v46, 0
	v_mbcnt_hi_u32_b32 v47, v37, v47
	v_cmp_eq_u32_e32 vcc, 0, v47
	s_and_saveexec_b64 s[94:95], vcc
	s_cbranch_execz .LBB29_1
; %bb.35:                               ;   in Loop: Header=BB29_2 Depth=1
	v_bcnt_u32_b32 v46, v46, 0
	v_bcnt_u32_b32 v46, v37, v46
	scratch_load_dword v37, off, off offset:416 ; 4-byte Folded Reload
	v_mov_b32_e32 v47, v36
	s_waitcnt vmcnt(0)
	ds_add_u64 v37, v[46:47]
	s_branch .LBB29_1
.LBB29_36:
	s_and_saveexec_b64 s[0:1], s[92:93]
	s_cbranch_execz .LBB29_38
; %bb.37:
	scratch_load_dword v0, off, off offset:352 ; 4-byte Folded Reload
	scratch_load_dwordx2 v[4:5], off, off offset:524 ; 8-byte Folded Reload
	v_readlane_b32 s0, v252, 0
	v_readlane_b32 s2, v252, 2
	;; [unrolled: 1-line block ×3, first 2 shown]
	s_waitcnt vmcnt(0)
	v_mov_b32_e32 v5, 0
	v_mov_b32_e32 v2, s2
	;; [unrolled: 1-line block ×3, first 2 shown]
	v_readlane_b32 s1, v252, 1
	ds_read_b64 v[0:1], v0
	v_lshl_add_u64 v[2:3], v[4:5], 3, v[2:3]
	s_waitcnt lgkmcnt(0)
	global_store_dwordx2 v[2:3], v[0:1], off
.LBB29_38:
	s_endpgm
	.section	.rodata,"a",@progbits
	.p2align	6, 0x0
	.amdhsa_kernel _Z6kernelI9histogramILN6hipcub23BlockHistogramAlgorithmE0EEyLj320ELj16ELj320ELj100EEvPKT0_PS4_
		.amdhsa_group_segment_fixed_size 2560
		.amdhsa_private_segment_fixed_size 536
		.amdhsa_kernarg_size 16
		.amdhsa_user_sgpr_count 2
		.amdhsa_user_sgpr_dispatch_ptr 0
		.amdhsa_user_sgpr_queue_ptr 0
		.amdhsa_user_sgpr_kernarg_segment_ptr 1
		.amdhsa_user_sgpr_dispatch_id 0
		.amdhsa_user_sgpr_kernarg_preload_length 0
		.amdhsa_user_sgpr_kernarg_preload_offset 0
		.amdhsa_user_sgpr_private_segment_size 0
		.amdhsa_uses_dynamic_stack 0
		.amdhsa_enable_private_segment 1
		.amdhsa_system_sgpr_workgroup_id_x 1
		.amdhsa_system_sgpr_workgroup_id_y 0
		.amdhsa_system_sgpr_workgroup_id_z 0
		.amdhsa_system_sgpr_workgroup_info 0
		.amdhsa_system_vgpr_workitem_id 0
		.amdhsa_next_free_vgpr 256
		.amdhsa_next_free_sgpr 100
		.amdhsa_accum_offset 256
		.amdhsa_reserve_vcc 1
		.amdhsa_float_round_mode_32 0
		.amdhsa_float_round_mode_16_64 0
		.amdhsa_float_denorm_mode_32 3
		.amdhsa_float_denorm_mode_16_64 3
		.amdhsa_dx10_clamp 1
		.amdhsa_ieee_mode 1
		.amdhsa_fp16_overflow 0
		.amdhsa_tg_split 0
		.amdhsa_exception_fp_ieee_invalid_op 0
		.amdhsa_exception_fp_denorm_src 0
		.amdhsa_exception_fp_ieee_div_zero 0
		.amdhsa_exception_fp_ieee_overflow 0
		.amdhsa_exception_fp_ieee_underflow 0
		.amdhsa_exception_fp_ieee_inexact 0
		.amdhsa_exception_int_div_zero 0
	.end_amdhsa_kernel
	.section	.text._Z6kernelI9histogramILN6hipcub23BlockHistogramAlgorithmE0EEyLj320ELj16ELj320ELj100EEvPKT0_PS4_,"axG",@progbits,_Z6kernelI9histogramILN6hipcub23BlockHistogramAlgorithmE0EEyLj320ELj16ELj320ELj100EEvPKT0_PS4_,comdat
.Lfunc_end29:
	.size	_Z6kernelI9histogramILN6hipcub23BlockHistogramAlgorithmE0EEyLj320ELj16ELj320ELj100EEvPKT0_PS4_, .Lfunc_end29-_Z6kernelI9histogramILN6hipcub23BlockHistogramAlgorithmE0EEyLj320ELj16ELj320ELj100EEvPKT0_PS4_
                                        ; -- End function
	.section	.AMDGPU.csdata,"",@progbits
; Kernel info:
; codeLenInByte = 14104
; NumSgprs: 106
; NumVgprs: 256
; NumAgprs: 0
; TotalNumVgprs: 256
; ScratchSize: 536
; MemoryBound: 0
; FloatMode: 240
; IeeeMode: 1
; LDSByteSize: 2560 bytes/workgroup (compile time only)
; SGPRBlocks: 13
; VGPRBlocks: 31
; NumSGPRsForWavesPerEU: 106
; NumVGPRsForWavesPerEU: 256
; AccumOffset: 256
; Occupancy: 2
; WaveLimiterHint : 0
; COMPUTE_PGM_RSRC2:SCRATCH_EN: 1
; COMPUTE_PGM_RSRC2:USER_SGPR: 2
; COMPUTE_PGM_RSRC2:TRAP_HANDLER: 0
; COMPUTE_PGM_RSRC2:TGID_X_EN: 1
; COMPUTE_PGM_RSRC2:TGID_Y_EN: 0
; COMPUTE_PGM_RSRC2:TGID_Z_EN: 0
; COMPUTE_PGM_RSRC2:TIDIG_COMP_CNT: 0
; COMPUTE_PGM_RSRC3_GFX90A:ACCUM_OFFSET: 63
; COMPUTE_PGM_RSRC3_GFX90A:TG_SPLIT: 0
	.section	.text._Z6kernelI9histogramILN6hipcub23BlockHistogramAlgorithmE1EEiLj256ELj1ELj256ELj100EEvPKT0_PS4_,"axG",@progbits,_Z6kernelI9histogramILN6hipcub23BlockHistogramAlgorithmE1EEiLj256ELj1ELj256ELj100EEvPKT0_PS4_,comdat
	.protected	_Z6kernelI9histogramILN6hipcub23BlockHistogramAlgorithmE1EEiLj256ELj1ELj256ELj100EEvPKT0_PS4_ ; -- Begin function _Z6kernelI9histogramILN6hipcub23BlockHistogramAlgorithmE1EEiLj256ELj1ELj256ELj100EEvPKT0_PS4_
	.globl	_Z6kernelI9histogramILN6hipcub23BlockHistogramAlgorithmE1EEiLj256ELj1ELj256ELj100EEvPKT0_PS4_
	.p2align	8
	.type	_Z6kernelI9histogramILN6hipcub23BlockHistogramAlgorithmE1EEiLj256ELj1ELj256ELj100EEvPKT0_PS4_,@function
_Z6kernelI9histogramILN6hipcub23BlockHistogramAlgorithmE1EEiLj256ELj1ELj256ELj100EEvPKT0_PS4_: ; @_Z6kernelI9histogramILN6hipcub23BlockHistogramAlgorithmE1EEiLj256ELj1ELj256ELj100EEvPKT0_PS4_
; %bb.0:
	s_load_dwordx4 s[36:39], s[0:1], 0x0
	s_load_dword s28, s[0:1], 0x1c
	s_lshl_b32 s0, s2, 8
	v_and_b32_e32 v6, 0x3ff, v0
	v_mov_b32_e32 v9, 0
	s_waitcnt lgkmcnt(0)
	v_mov_b32_e32 v2, s36
	v_mov_b32_e32 v3, s37
	v_or_b32_e32 v4, s0, v6
	v_mov_b32_e32 v5, v9
	v_lshl_add_u64 v[2:3], v[4:5], 2, v[2:3]
	global_load_dword v2, v[2:3], off
	v_mbcnt_lo_u32_b32 v1, -1, 0
	v_mbcnt_hi_u32_b32 v1, -1, v1
	v_bfe_u32 v8, v0, 10, 10
	v_bfe_u32 v0, v0, 20, 10
	v_add_u32_e32 v24, -1, v1
	v_and_b32_e32 v25, 64, v1
	s_lshr_b32 s29, s28, 16
	s_movk_i32 s0, 0x100
	s_mov_b32 s34, 0
	v_mov_b32_e32 v3, 0x1010
	v_mov_b32_e32 v7, 30
	v_lshlrev_b32_e32 v20, 4, v6
	v_and_b32_e32 v21, 15, v1
	v_and_b32_e32 v22, 16, v1
	;; [unrolled: 1-line block ×3, first 2 shown]
	v_lshrrev_b32_e32 v26, 4, v6
	v_cmp_lt_i32_e64 s[22:23], v24, v25
	s_and_b32 s28, s28, 0xffff
	v_mad_u32_u24 v0, v0, s29, v8
	s_mov_b32 s35, s34
	s_mov_b32 s36, s34
	;; [unrolled: 1-line block ×3, first 2 shown]
	v_cmp_gt_u32_e32 vcc, s0, v6
	v_cmp_lt_u32_e64 s[0:1], 31, v1
	v_cmp_eq_u32_e64 s[6:7], 0, v1
	v_and_b32_e32 v27, 3, v1
	v_lshl_add_u32 v19, v6, 2, v3
	v_cmp_eq_u32_e64 s[12:13], 0, v21
	v_cmp_lt_u32_e64 s[14:15], 1, v21
	v_cmp_lt_u32_e64 s[16:17], 3, v21
	;; [unrolled: 1-line block ×3, first 2 shown]
	v_cmp_eq_u32_e64 s[20:21], 0, v22
	v_or_b32_e32 v3, 63, v23
	v_cndmask_b32_e64 v24, v24, v1, s[22:23]
	v_and_b32_e32 v21, 12, v26
	v_mad_i32_i24 v22, v6, -12, v20
	v_add_lshl_u32 v23, v1, v23, 2
	v_mad_u64_u32 v[0:1], s[28:29], v0, s28, v[6:7]
	s_movk_i32 s33, 0x64
	v_mov_b32_e32 v5, 0x100
	v_mov_b32_e32 v14, 29
	;; [unrolled: 1-line block ×6, first 2 shown]
	v_cmp_gt_u32_e64 s[2:3], 4, v6
	v_cmp_lt_u32_e64 s[4:5], 63, v6
	v_cmp_eq_u32_e64 s[8:9], 0, v6
	v_cmp_ne_u32_e64 s[10:11], 0, v6
	v_mov_b64_e32 v[10:11], s[34:35]
	v_mov_b64_e32 v[12:13], s[36:37]
	v_cmp_eq_u32_e64 s[22:23], 0, v27
	v_cmp_lt_u32_e64 s[24:25], 1, v27
	v_cmp_eq_u32_e64 s[26:27], v3, v6
	v_lshlrev_b32_e32 v24, 2, v24
	v_add_u32_e32 v25, -4, v21
	v_add_u32_e32 v26, -4, v22
	v_lshrrev_b32_e32 v27, 6, v0
	v_mov_b32_e32 v28, 24
	s_waitcnt vmcnt(0)
	v_xor_b32_e32 v29, 0x80000000, v2
	s_branch .LBB30_2
.LBB30_1:                               ;   in Loop: Header=BB30_2 Depth=1
	s_or_b64 exec, exec, s[28:29]
	s_add_i32 s33, s33, -1
	s_cmp_eq_u32 s33, 0
	s_cbranch_scc1 .LBB30_45
.LBB30_2:                               ; =>This Inner Loop Header: Depth=1
	s_and_saveexec_b64 s[28:29], vcc
	s_cbranch_execz .LBB30_4
; %bb.3:                                ;   in Loop: Header=BB30_2 Depth=1
	ds_write_b32 v19, v9
.LBB30_4:                               ;   in Loop: Header=BB30_2 Depth=1
	s_or_b64 exec, exec, s[28:29]
	v_and_b32_e32 v0, 0xff, v29
	v_lshl_add_u32 v0, v0, 2, v27
	v_and_b32_e32 v8, 1, v29
	v_lshl_add_u32 v30, v0, 2, 16
	v_lshl_add_u64 v[0:1], v[8:9], 0, -1
	v_cmp_ne_u32_e64 s[28:29], 0, v8
	s_waitcnt lgkmcnt(0)
	s_barrier
	v_xor_b32_e32 v1, s29, v1
	v_xor_b32_e32 v0, s28, v0
	v_and_b32_e32 v2, exec_hi, v1
	v_and_b32_e32 v3, exec_lo, v0
	v_lshlrev_b32_e32 v1, 30, v29
	v_mov_b32_e32 v0, v9
	v_cmp_gt_i64_e64 s[28:29], 0, v[0:1]
	v_not_b32_e32 v0, v1
	v_ashrrev_i32_e32 v0, 31, v0
	v_xor_b32_e32 v1, s29, v0
	v_xor_b32_e32 v0, s28, v0
	v_and_b32_e32 v2, v2, v1
	v_and_b32_e32 v3, v3, v0
	v_lshlrev_b32_e32 v1, 29, v29
	v_mov_b32_e32 v0, v9
	v_cmp_gt_i64_e64 s[28:29], 0, v[0:1]
	v_not_b32_e32 v0, v1
	v_ashrrev_i32_e32 v0, 31, v0
	v_xor_b32_e32 v1, s29, v0
	v_xor_b32_e32 v0, s28, v0
	v_and_b32_e32 v2, v2, v1
	v_and_b32_e32 v3, v3, v0
	;; [unrolled: 9-line block ×7, first 2 shown]
	v_mbcnt_lo_u32_b32 v2, v0, 0
	v_mbcnt_hi_u32_b32 v8, v1, v2
	v_cmp_eq_u32_e64 s[28:29], 0, v8
	v_cmp_ne_u64_e64 s[30:31], 0, v[0:1]
	s_and_b64 s[30:31], s[30:31], s[28:29]
	ds_write2_b64 v20, v[10:11], v[12:13] offset0:2 offset1:3
	s_waitcnt lgkmcnt(0)
	s_barrier
	s_waitcnt lgkmcnt(0)
	; wave barrier
	s_and_saveexec_b64 s[28:29], s[30:31]
	s_cbranch_execz .LBB30_6
; %bb.5:                                ;   in Loop: Header=BB30_2 Depth=1
	v_bcnt_u32_b32 v0, v0, 0
	v_bcnt_u32_b32 v0, v1, v0
	ds_write_b32 v30, v0
.LBB30_6:                               ;   in Loop: Header=BB30_2 Depth=1
	s_or_b64 exec, exec, s[28:29]
	; wave barrier
	s_waitcnt lgkmcnt(0)
	s_barrier
	ds_read2_b64 v[0:3], v20 offset0:2 offset1:3
	s_waitcnt lgkmcnt(0)
	v_add_u32_e32 v31, v1, v0
	v_add3_u32 v3, v31, v2, v3
	s_nop 1
	v_mov_b32_dpp v31, v3 row_shr:1 row_mask:0xf bank_mask:0xf
	v_cndmask_b32_e64 v31, v31, 0, s[12:13]
	v_add_u32_e32 v3, v31, v3
	s_nop 1
	v_mov_b32_dpp v31, v3 row_shr:2 row_mask:0xf bank_mask:0xf
	v_cndmask_b32_e64 v31, 0, v31, s[14:15]
	v_add_u32_e32 v3, v3, v31
	s_nop 1
	v_mov_b32_dpp v31, v3 row_shr:4 row_mask:0xf bank_mask:0xf
	v_cndmask_b32_e64 v31, 0, v31, s[16:17]
	v_add_u32_e32 v3, v3, v31
	s_nop 1
	v_mov_b32_dpp v31, v3 row_shr:8 row_mask:0xf bank_mask:0xf
	v_cndmask_b32_e64 v31, 0, v31, s[18:19]
	v_add_u32_e32 v3, v3, v31
	s_nop 1
	v_mov_b32_dpp v31, v3 row_bcast:15 row_mask:0xf bank_mask:0xf
	v_cndmask_b32_e64 v31, v31, 0, s[20:21]
	v_add_u32_e32 v3, v3, v31
	s_nop 1
	v_mov_b32_dpp v31, v3 row_bcast:31 row_mask:0xf bank_mask:0xf
	v_cndmask_b32_e64 v31, 0, v31, s[0:1]
	v_add_u32_e32 v3, v3, v31
	s_and_saveexec_b64 s[28:29], s[26:27]
	s_cbranch_execz .LBB30_8
; %bb.7:                                ;   in Loop: Header=BB30_2 Depth=1
	ds_write_b32 v21, v3
.LBB30_8:                               ;   in Loop: Header=BB30_2 Depth=1
	s_or_b64 exec, exec, s[28:29]
	s_waitcnt lgkmcnt(0)
	s_barrier
	s_and_saveexec_b64 s[28:29], s[2:3]
	s_cbranch_execz .LBB30_10
; %bb.9:                                ;   in Loop: Header=BB30_2 Depth=1
	ds_read_b32 v31, v22
	s_waitcnt lgkmcnt(0)
	s_nop 0
	v_mov_b32_dpp v32, v31 row_shr:1 row_mask:0xf bank_mask:0xf
	v_cndmask_b32_e64 v32, v32, 0, s[22:23]
	v_add_u32_e32 v31, v32, v31
	s_nop 1
	v_mov_b32_dpp v32, v31 row_shr:2 row_mask:0xf bank_mask:0xf
	v_cndmask_b32_e64 v32, 0, v32, s[24:25]
	v_add_u32_e32 v31, v31, v32
	ds_write_b32 v22, v31
.LBB30_10:                              ;   in Loop: Header=BB30_2 Depth=1
	s_or_b64 exec, exec, s[28:29]
	v_mov_b32_e32 v31, 0
	s_waitcnt lgkmcnt(0)
	s_barrier
	s_and_saveexec_b64 s[28:29], s[4:5]
	s_cbranch_execz .LBB30_12
; %bb.11:                               ;   in Loop: Header=BB30_2 Depth=1
	ds_read_b32 v31, v25
.LBB30_12:                              ;   in Loop: Header=BB30_2 Depth=1
	s_or_b64 exec, exec, s[28:29]
	s_waitcnt lgkmcnt(0)
	v_add_u32_e32 v3, v31, v3
	ds_bpermute_b32 v3, v24, v3
	s_waitcnt lgkmcnt(0)
	v_cndmask_b32_e64 v3, v3, v31, s[6:7]
	v_cndmask_b32_e64 v32, v3, 0, s[8:9]
	v_add_u32_e32 v33, v32, v0
	v_add_u32_e32 v0, v33, v1
	;; [unrolled: 1-line block ×3, first 2 shown]
	ds_write2_b64 v20, v[32:33], v[0:1] offset0:2 offset1:3
	s_waitcnt lgkmcnt(0)
	s_barrier
	ds_read_b32 v0, v30
	v_lshlrev_b32_e32 v1, 2, v8
	s_waitcnt lgkmcnt(0)
	s_barrier
	v_lshl_add_u32 v0, v0, 2, v1
	ds_write_b32 v0, v29
	s_waitcnt lgkmcnt(0)
	s_barrier
	ds_read_b32 v29, v23
	v_mov_b64_e32 v[0:1], s[34:35]
	v_mov_b64_e32 v[2:3], s[36:37]
	s_waitcnt lgkmcnt(0)
	s_barrier
	ds_write2_b64 v20, v[0:1], v[2:3] offset0:2 offset1:3
	v_bfe_u32 v0, v29, 8, 8
	v_lshl_add_u32 v0, v0, 2, v27
	v_bfe_u32 v8, v29, 8, 1
	v_lshl_add_u32 v30, v0, 2, 16
	v_lshl_add_u64 v[0:1], v[8:9], 0, -1
	v_cmp_ne_u32_e64 s[28:29], 0, v8
	v_lshrrev_b32_e32 v2, 8, v29
	s_waitcnt lgkmcnt(0)
	v_xor_b32_e32 v1, s29, v1
	v_xor_b32_e32 v0, s28, v0
	v_and_b32_e32 v3, exec_hi, v1
	v_and_b32_e32 v8, exec_lo, v0
	v_lshlrev_b32_e32 v1, 30, v2
	v_mov_b32_e32 v0, v9
	v_cmp_gt_i64_e64 s[28:29], 0, v[0:1]
	v_not_b32_e32 v0, v1
	v_ashrrev_i32_e32 v0, 31, v0
	v_xor_b32_e32 v1, s29, v0
	v_xor_b32_e32 v0, s28, v0
	v_and_b32_e32 v3, v3, v1
	v_and_b32_e32 v8, v8, v0
	v_lshlrev_b32_e32 v1, 29, v2
	v_mov_b32_e32 v0, v9
	v_cmp_gt_i64_e64 s[28:29], 0, v[0:1]
	v_not_b32_e32 v0, v1
	v_ashrrev_i32_e32 v0, 31, v0
	v_xor_b32_e32 v1, s29, v0
	v_xor_b32_e32 v0, s28, v0
	v_and_b32_e32 v3, v3, v1
	v_and_b32_e32 v8, v8, v0
	;; [unrolled: 9-line block ×7, first 2 shown]
	v_mbcnt_lo_u32_b32 v2, v0, 0
	v_mbcnt_hi_u32_b32 v8, v1, v2
	v_cmp_eq_u32_e64 s[28:29], 0, v8
	v_cmp_ne_u64_e64 s[30:31], 0, v[0:1]
	s_and_b64 s[30:31], s[30:31], s[28:29]
	s_barrier
	s_waitcnt lgkmcnt(0)
	; wave barrier
	s_and_saveexec_b64 s[28:29], s[30:31]
	s_cbranch_execz .LBB30_14
; %bb.13:                               ;   in Loop: Header=BB30_2 Depth=1
	v_bcnt_u32_b32 v0, v0, 0
	v_bcnt_u32_b32 v0, v1, v0
	ds_write_b32 v30, v0
.LBB30_14:                              ;   in Loop: Header=BB30_2 Depth=1
	s_or_b64 exec, exec, s[28:29]
	; wave barrier
	s_waitcnt lgkmcnt(0)
	s_barrier
	ds_read2_b64 v[0:3], v20 offset0:2 offset1:3
	s_waitcnt lgkmcnt(0)
	v_add_u32_e32 v31, v1, v0
	v_add3_u32 v3, v31, v2, v3
	s_nop 1
	v_mov_b32_dpp v31, v3 row_shr:1 row_mask:0xf bank_mask:0xf
	v_cndmask_b32_e64 v31, v31, 0, s[12:13]
	v_add_u32_e32 v3, v31, v3
	s_nop 1
	v_mov_b32_dpp v31, v3 row_shr:2 row_mask:0xf bank_mask:0xf
	v_cndmask_b32_e64 v31, 0, v31, s[14:15]
	v_add_u32_e32 v3, v3, v31
	;; [unrolled: 4-line block ×4, first 2 shown]
	s_nop 1
	v_mov_b32_dpp v31, v3 row_bcast:15 row_mask:0xf bank_mask:0xf
	v_cndmask_b32_e64 v31, v31, 0, s[20:21]
	v_add_u32_e32 v3, v3, v31
	s_nop 1
	v_mov_b32_dpp v31, v3 row_bcast:31 row_mask:0xf bank_mask:0xf
	v_cndmask_b32_e64 v31, 0, v31, s[0:1]
	v_add_u32_e32 v3, v3, v31
	s_and_saveexec_b64 s[28:29], s[26:27]
	s_cbranch_execz .LBB30_16
; %bb.15:                               ;   in Loop: Header=BB30_2 Depth=1
	ds_write_b32 v21, v3
.LBB30_16:                              ;   in Loop: Header=BB30_2 Depth=1
	s_or_b64 exec, exec, s[28:29]
	s_waitcnt lgkmcnt(0)
	s_barrier
	s_and_saveexec_b64 s[28:29], s[2:3]
	s_cbranch_execz .LBB30_18
; %bb.17:                               ;   in Loop: Header=BB30_2 Depth=1
	ds_read_b32 v31, v22
	s_waitcnt lgkmcnt(0)
	s_nop 0
	v_mov_b32_dpp v32, v31 row_shr:1 row_mask:0xf bank_mask:0xf
	v_cndmask_b32_e64 v32, v32, 0, s[22:23]
	v_add_u32_e32 v31, v32, v31
	s_nop 1
	v_mov_b32_dpp v32, v31 row_shr:2 row_mask:0xf bank_mask:0xf
	v_cndmask_b32_e64 v32, 0, v32, s[24:25]
	v_add_u32_e32 v31, v31, v32
	ds_write_b32 v22, v31
.LBB30_18:                              ;   in Loop: Header=BB30_2 Depth=1
	s_or_b64 exec, exec, s[28:29]
	v_mov_b32_e32 v31, 0
	s_waitcnt lgkmcnt(0)
	s_barrier
	s_and_saveexec_b64 s[28:29], s[4:5]
	s_cbranch_execz .LBB30_20
; %bb.19:                               ;   in Loop: Header=BB30_2 Depth=1
	ds_read_b32 v31, v25
.LBB30_20:                              ;   in Loop: Header=BB30_2 Depth=1
	s_or_b64 exec, exec, s[28:29]
	s_waitcnt lgkmcnt(0)
	v_add_u32_e32 v3, v31, v3
	ds_bpermute_b32 v3, v24, v3
	s_waitcnt lgkmcnt(0)
	v_cndmask_b32_e64 v3, v3, v31, s[6:7]
	v_cndmask_b32_e64 v32, v3, 0, s[8:9]
	v_add_u32_e32 v33, v32, v0
	v_add_u32_e32 v0, v33, v1
	v_add_u32_e32 v1, v0, v2
	ds_write2_b64 v20, v[32:33], v[0:1] offset0:2 offset1:3
	s_waitcnt lgkmcnt(0)
	s_barrier
	ds_read_b32 v0, v30
	v_lshlrev_b32_e32 v1, 2, v8
	s_waitcnt lgkmcnt(0)
	s_barrier
	v_lshl_add_u32 v0, v0, 2, v1
	ds_write_b32 v0, v29
	s_waitcnt lgkmcnt(0)
	s_barrier
	ds_read_b32 v29, v23
	v_mov_b64_e32 v[0:1], s[34:35]
	v_mov_b64_e32 v[2:3], s[36:37]
	s_waitcnt lgkmcnt(0)
	s_barrier
	ds_write2_b64 v20, v[0:1], v[2:3] offset0:2 offset1:3
	v_bfe_u32 v0, v29, 16, 8
	v_lshl_add_u32 v0, v0, 2, v27
	v_bfe_u32 v8, v29, 16, 1
	v_lshl_add_u32 v30, v0, 2, 16
	v_lshl_add_u64 v[0:1], v[8:9], 0, -1
	v_cmp_ne_u32_e64 s[28:29], 0, v8
	s_waitcnt lgkmcnt(0)
	s_barrier
	v_xor_b32_e32 v1, s29, v1
	v_xor_b32_e32 v0, s28, v0
	v_and_b32_e32 v2, exec_hi, v1
	v_and_b32_e32 v3, exec_lo, v0
	v_lshlrev_b32_sdwa v1, v7, v29 dst_sel:DWORD dst_unused:UNUSED_PAD src0_sel:DWORD src1_sel:WORD_1
	v_mov_b32_e32 v0, v9
	v_cmp_gt_i64_e64 s[28:29], 0, v[0:1]
	v_not_b32_e32 v0, v1
	v_ashrrev_i32_e32 v0, 31, v0
	v_xor_b32_e32 v1, s29, v0
	v_xor_b32_e32 v0, s28, v0
	v_and_b32_e32 v2, v2, v1
	v_and_b32_e32 v3, v3, v0
	v_lshlrev_b32_sdwa v1, v14, v29 dst_sel:DWORD dst_unused:UNUSED_PAD src0_sel:DWORD src1_sel:WORD_1
	v_mov_b32_e32 v0, v9
	v_cmp_gt_i64_e64 s[28:29], 0, v[0:1]
	v_not_b32_e32 v0, v1
	v_ashrrev_i32_e32 v0, 31, v0
	v_xor_b32_e32 v1, s29, v0
	v_xor_b32_e32 v0, s28, v0
	v_and_b32_e32 v2, v2, v1
	v_and_b32_e32 v3, v3, v0
	;; [unrolled: 9-line block ×7, first 2 shown]
	v_mbcnt_lo_u32_b32 v2, v0, 0
	v_mbcnt_hi_u32_b32 v8, v1, v2
	v_cmp_eq_u32_e64 s[28:29], 0, v8
	v_cmp_ne_u64_e64 s[30:31], 0, v[0:1]
	s_and_b64 s[30:31], s[30:31], s[28:29]
	s_waitcnt lgkmcnt(0)
	; wave barrier
	s_and_saveexec_b64 s[28:29], s[30:31]
	s_cbranch_execz .LBB30_22
; %bb.21:                               ;   in Loop: Header=BB30_2 Depth=1
	v_bcnt_u32_b32 v0, v0, 0
	v_bcnt_u32_b32 v0, v1, v0
	ds_write_b32 v30, v0
.LBB30_22:                              ;   in Loop: Header=BB30_2 Depth=1
	s_or_b64 exec, exec, s[28:29]
	; wave barrier
	s_waitcnt lgkmcnt(0)
	s_barrier
	ds_read2_b64 v[0:3], v20 offset0:2 offset1:3
	s_waitcnt lgkmcnt(0)
	v_add_u32_e32 v31, v1, v0
	v_add3_u32 v3, v31, v2, v3
	s_nop 1
	v_mov_b32_dpp v31, v3 row_shr:1 row_mask:0xf bank_mask:0xf
	v_cndmask_b32_e64 v31, v31, 0, s[12:13]
	v_add_u32_e32 v3, v31, v3
	s_nop 1
	v_mov_b32_dpp v31, v3 row_shr:2 row_mask:0xf bank_mask:0xf
	v_cndmask_b32_e64 v31, 0, v31, s[14:15]
	v_add_u32_e32 v3, v3, v31
	s_nop 1
	v_mov_b32_dpp v31, v3 row_shr:4 row_mask:0xf bank_mask:0xf
	v_cndmask_b32_e64 v31, 0, v31, s[16:17]
	v_add_u32_e32 v3, v3, v31
	s_nop 1
	v_mov_b32_dpp v31, v3 row_shr:8 row_mask:0xf bank_mask:0xf
	v_cndmask_b32_e64 v31, 0, v31, s[18:19]
	v_add_u32_e32 v3, v3, v31
	s_nop 1
	v_mov_b32_dpp v31, v3 row_bcast:15 row_mask:0xf bank_mask:0xf
	v_cndmask_b32_e64 v31, v31, 0, s[20:21]
	v_add_u32_e32 v3, v3, v31
	s_nop 1
	v_mov_b32_dpp v31, v3 row_bcast:31 row_mask:0xf bank_mask:0xf
	v_cndmask_b32_e64 v31, 0, v31, s[0:1]
	v_add_u32_e32 v3, v3, v31
	s_and_saveexec_b64 s[28:29], s[26:27]
	s_cbranch_execz .LBB30_24
; %bb.23:                               ;   in Loop: Header=BB30_2 Depth=1
	ds_write_b32 v21, v3
.LBB30_24:                              ;   in Loop: Header=BB30_2 Depth=1
	s_or_b64 exec, exec, s[28:29]
	s_waitcnt lgkmcnt(0)
	s_barrier
	s_and_saveexec_b64 s[28:29], s[2:3]
	s_cbranch_execz .LBB30_26
; %bb.25:                               ;   in Loop: Header=BB30_2 Depth=1
	ds_read_b32 v31, v22
	s_waitcnt lgkmcnt(0)
	s_nop 0
	v_mov_b32_dpp v32, v31 row_shr:1 row_mask:0xf bank_mask:0xf
	v_cndmask_b32_e64 v32, v32, 0, s[22:23]
	v_add_u32_e32 v31, v32, v31
	s_nop 1
	v_mov_b32_dpp v32, v31 row_shr:2 row_mask:0xf bank_mask:0xf
	v_cndmask_b32_e64 v32, 0, v32, s[24:25]
	v_add_u32_e32 v31, v31, v32
	ds_write_b32 v22, v31
.LBB30_26:                              ;   in Loop: Header=BB30_2 Depth=1
	s_or_b64 exec, exec, s[28:29]
	v_mov_b32_e32 v31, 0
	s_waitcnt lgkmcnt(0)
	s_barrier
	s_and_saveexec_b64 s[28:29], s[4:5]
	s_cbranch_execz .LBB30_28
; %bb.27:                               ;   in Loop: Header=BB30_2 Depth=1
	ds_read_b32 v31, v25
.LBB30_28:                              ;   in Loop: Header=BB30_2 Depth=1
	s_or_b64 exec, exec, s[28:29]
	s_waitcnt lgkmcnt(0)
	v_add_u32_e32 v3, v31, v3
	ds_bpermute_b32 v3, v24, v3
	s_waitcnt lgkmcnt(0)
	v_cndmask_b32_e64 v3, v3, v31, s[6:7]
	v_cndmask_b32_e64 v32, v3, 0, s[8:9]
	v_add_u32_e32 v33, v32, v0
	v_add_u32_e32 v0, v33, v1
	;; [unrolled: 1-line block ×3, first 2 shown]
	ds_write2_b64 v20, v[32:33], v[0:1] offset0:2 offset1:3
	s_waitcnt lgkmcnt(0)
	s_barrier
	ds_read_b32 v0, v30
	v_lshlrev_b32_e32 v1, 2, v8
	s_waitcnt lgkmcnt(0)
	s_barrier
	v_lshl_add_u32 v0, v0, 2, v1
	ds_write_b32 v0, v29
	s_waitcnt lgkmcnt(0)
	s_barrier
	ds_read_b32 v29, v23
	v_mov_b64_e32 v[0:1], s[34:35]
	v_mov_b64_e32 v[2:3], s[36:37]
	s_waitcnt lgkmcnt(0)
	s_barrier
	ds_write2_b64 v20, v[0:1], v[2:3] offset0:2 offset1:3
	v_lshrrev_b32_e32 v2, 24, v29
	v_lshl_add_u32 v0, v2, 2, v27
	v_bfe_u32 v8, v29, 24, 1
	v_lshl_add_u32 v30, v0, 2, 16
	v_lshl_add_u64 v[0:1], v[8:9], 0, -1
	v_cmp_ne_u32_e64 s[28:29], 0, v8
	s_waitcnt lgkmcnt(0)
	s_barrier
	v_xor_b32_e32 v1, s29, v1
	v_xor_b32_e32 v0, s28, v0
	v_and_b32_e32 v3, exec_hi, v1
	v_and_b32_e32 v8, exec_lo, v0
	v_lshlrev_b32_e32 v1, 30, v2
	v_mov_b32_e32 v0, v9
	v_cmp_gt_i64_e64 s[28:29], 0, v[0:1]
	v_not_b32_e32 v0, v1
	v_ashrrev_i32_e32 v0, 31, v0
	v_xor_b32_e32 v1, s29, v0
	v_xor_b32_e32 v0, s28, v0
	v_and_b32_e32 v3, v3, v1
	v_and_b32_e32 v8, v8, v0
	v_lshlrev_b32_e32 v1, 29, v2
	v_mov_b32_e32 v0, v9
	v_cmp_gt_i64_e64 s[28:29], 0, v[0:1]
	v_not_b32_e32 v0, v1
	v_ashrrev_i32_e32 v0, 31, v0
	v_xor_b32_e32 v1, s29, v0
	v_xor_b32_e32 v0, s28, v0
	v_and_b32_e32 v3, v3, v1
	v_and_b32_e32 v8, v8, v0
	;; [unrolled: 9-line block ×6, first 2 shown]
	v_and_b32_e32 v1, 0xff000000, v29
	v_mov_b32_e32 v0, v9
	v_cmp_gt_i64_e64 s[28:29], 0, v[0:1]
	v_not_b32_e32 v0, v1
	v_ashrrev_i32_e32 v0, 31, v0
	v_xor_b32_e32 v1, s29, v0
	v_xor_b32_e32 v0, s28, v0
	v_and_b32_e32 v0, v3, v0
	v_and_b32_e32 v1, v2, v1
	v_mbcnt_lo_u32_b32 v2, v0, 0
	v_mbcnt_hi_u32_b32 v8, v1, v2
	v_cmp_eq_u32_e64 s[28:29], 0, v8
	v_cmp_ne_u64_e64 s[30:31], 0, v[0:1]
	s_and_b64 s[30:31], s[30:31], s[28:29]
	s_waitcnt lgkmcnt(0)
	; wave barrier
	s_and_saveexec_b64 s[28:29], s[30:31]
	s_cbranch_execz .LBB30_30
; %bb.29:                               ;   in Loop: Header=BB30_2 Depth=1
	v_bcnt_u32_b32 v0, v0, 0
	v_bcnt_u32_b32 v0, v1, v0
	ds_write_b32 v30, v0
.LBB30_30:                              ;   in Loop: Header=BB30_2 Depth=1
	s_or_b64 exec, exec, s[28:29]
	; wave barrier
	s_waitcnt lgkmcnt(0)
	s_barrier
	ds_read2_b64 v[0:3], v20 offset0:2 offset1:3
	s_waitcnt lgkmcnt(0)
	v_add_u32_e32 v31, v1, v0
	v_add3_u32 v3, v31, v2, v3
	s_nop 1
	v_mov_b32_dpp v31, v3 row_shr:1 row_mask:0xf bank_mask:0xf
	v_cndmask_b32_e64 v31, v31, 0, s[12:13]
	v_add_u32_e32 v3, v31, v3
	s_nop 1
	v_mov_b32_dpp v31, v3 row_shr:2 row_mask:0xf bank_mask:0xf
	v_cndmask_b32_e64 v31, 0, v31, s[14:15]
	v_add_u32_e32 v3, v3, v31
	;; [unrolled: 4-line block ×4, first 2 shown]
	s_nop 1
	v_mov_b32_dpp v31, v3 row_bcast:15 row_mask:0xf bank_mask:0xf
	v_cndmask_b32_e64 v31, v31, 0, s[20:21]
	v_add_u32_e32 v3, v3, v31
	s_nop 1
	v_mov_b32_dpp v31, v3 row_bcast:31 row_mask:0xf bank_mask:0xf
	v_cndmask_b32_e64 v31, 0, v31, s[0:1]
	v_add_u32_e32 v3, v3, v31
	s_and_saveexec_b64 s[28:29], s[26:27]
	s_cbranch_execz .LBB30_32
; %bb.31:                               ;   in Loop: Header=BB30_2 Depth=1
	ds_write_b32 v21, v3
.LBB30_32:                              ;   in Loop: Header=BB30_2 Depth=1
	s_or_b64 exec, exec, s[28:29]
	s_waitcnt lgkmcnt(0)
	s_barrier
	s_and_saveexec_b64 s[28:29], s[2:3]
	s_cbranch_execz .LBB30_34
; %bb.33:                               ;   in Loop: Header=BB30_2 Depth=1
	ds_read_b32 v31, v22
	s_waitcnt lgkmcnt(0)
	s_nop 0
	v_mov_b32_dpp v32, v31 row_shr:1 row_mask:0xf bank_mask:0xf
	v_cndmask_b32_e64 v32, v32, 0, s[22:23]
	v_add_u32_e32 v31, v32, v31
	s_nop 1
	v_mov_b32_dpp v32, v31 row_shr:2 row_mask:0xf bank_mask:0xf
	v_cndmask_b32_e64 v32, 0, v32, s[24:25]
	v_add_u32_e32 v31, v31, v32
	ds_write_b32 v22, v31
.LBB30_34:                              ;   in Loop: Header=BB30_2 Depth=1
	s_or_b64 exec, exec, s[28:29]
	v_mov_b32_e32 v31, 0
	s_waitcnt lgkmcnt(0)
	s_barrier
	s_and_saveexec_b64 s[28:29], s[4:5]
	s_cbranch_execz .LBB30_36
; %bb.35:                               ;   in Loop: Header=BB30_2 Depth=1
	ds_read_b32 v31, v25
.LBB30_36:                              ;   in Loop: Header=BB30_2 Depth=1
	s_or_b64 exec, exec, s[28:29]
	s_waitcnt lgkmcnt(0)
	v_add_u32_e32 v3, v31, v3
	ds_bpermute_b32 v3, v24, v3
	s_waitcnt lgkmcnt(0)
	v_cndmask_b32_e64 v3, v3, v31, s[6:7]
	v_cndmask_b32_e64 v32, v3, 0, s[8:9]
	v_add_u32_e32 v33, v32, v0
	v_add_u32_e32 v0, v33, v1
	;; [unrolled: 1-line block ×3, first 2 shown]
	ds_write2_b64 v20, v[32:33], v[0:1] offset0:2 offset1:3
	s_waitcnt lgkmcnt(0)
	s_barrier
	ds_read_b32 v0, v30
	v_lshlrev_b32_e32 v1, 2, v8
	s_waitcnt lgkmcnt(0)
	s_barrier
	v_lshl_add_u32 v0, v0, 2, v1
	ds_write_b32 v0, v29
	s_waitcnt lgkmcnt(0)
	s_barrier
	ds_read_b32 v29, v22
	s_waitcnt lgkmcnt(0)
	s_barrier
	s_and_saveexec_b64 s[28:29], vcc
	s_cbranch_execz .LBB30_38
; %bb.37:                               ;   in Loop: Header=BB30_2 Depth=1
	ds_write2st64_b32 v22, v5, v5 offset0:8 offset1:12
.LBB30_38:                              ;   in Loop: Header=BB30_2 Depth=1
	s_or_b64 exec, exec, s[28:29]
	v_xor_b32_e32 v0, 0x80000000, v29
	s_waitcnt lgkmcnt(0)
	s_barrier
	ds_write_b32 v22, v0
	s_waitcnt lgkmcnt(0)
	s_barrier
	s_and_saveexec_b64 s[30:31], s[10:11]
	s_cbranch_execz .LBB30_41
; %bb.39:                               ;   in Loop: Header=BB30_2 Depth=1
	ds_read_b32 v1, v26
	s_waitcnt lgkmcnt(0)
	v_cmp_ne_u32_e64 s[28:29], v1, v0
	s_and_b64 exec, exec, s[28:29]
	s_cbranch_execz .LBB30_41
; %bb.40:                               ;   in Loop: Header=BB30_2 Depth=1
	v_lshlrev_b32_e32 v1, 2, v0
	ds_write_b32 v1, v6 offset:2048
	ds_read_b32 v1, v26
	s_waitcnt lgkmcnt(0)
	v_lshlrev_b32_e32 v1, 2, v1
	ds_write_b32 v1, v6 offset:3072
.LBB30_41:                              ;   in Loop: Header=BB30_2 Depth=1
	s_or_b64 exec, exec, s[30:31]
	s_waitcnt lgkmcnt(0)
	s_barrier
	s_and_saveexec_b64 s[28:29], s[8:9]
	s_cbranch_execz .LBB30_43
; %bb.42:                               ;   in Loop: Header=BB30_2 Depth=1
	v_lshlrev_b32_e32 v0, 2, v0
	ds_write_b32 v0, v9 offset:2048
.LBB30_43:                              ;   in Loop: Header=BB30_2 Depth=1
	s_or_b64 exec, exec, s[28:29]
	s_waitcnt lgkmcnt(0)
	s_barrier
	s_and_saveexec_b64 s[28:29], vcc
	s_cbranch_execz .LBB30_1
; %bb.44:                               ;   in Loop: Header=BB30_2 Depth=1
	ds_read2st64_b32 v[0:1], v22 offset0:8 offset1:12
	ds_read_b32 v2, v19
	s_waitcnt lgkmcnt(1)
	v_sub_u32_e32 v0, v1, v0
	s_waitcnt lgkmcnt(0)
	v_add_u32_e32 v0, v0, v2
	ds_write_b32 v19, v0
	s_branch .LBB30_1
.LBB30_45:
	s_and_saveexec_b64 s[0:1], vcc
	s_cbranch_execz .LBB30_47
; %bb.46:
	ds_read_b32 v2, v19
	v_mov_b32_e32 v0, s38
	v_mov_b32_e32 v1, s39
	;; [unrolled: 1-line block ×3, first 2 shown]
	v_lshl_add_u64 v[0:1], v[4:5], 2, v[0:1]
	s_waitcnt lgkmcnt(0)
	global_store_dword v[0:1], v2, off
.LBB30_47:
	s_endpgm
	.section	.rodata,"a",@progbits
	.p2align	6, 0x0
	.amdhsa_kernel _Z6kernelI9histogramILN6hipcub23BlockHistogramAlgorithmE1EEiLj256ELj1ELj256ELj100EEvPKT0_PS4_
		.amdhsa_group_segment_fixed_size 5136
		.amdhsa_private_segment_fixed_size 0
		.amdhsa_kernarg_size 272
		.amdhsa_user_sgpr_count 2
		.amdhsa_user_sgpr_dispatch_ptr 0
		.amdhsa_user_sgpr_queue_ptr 0
		.amdhsa_user_sgpr_kernarg_segment_ptr 1
		.amdhsa_user_sgpr_dispatch_id 0
		.amdhsa_user_sgpr_kernarg_preload_length 0
		.amdhsa_user_sgpr_kernarg_preload_offset 0
		.amdhsa_user_sgpr_private_segment_size 0
		.amdhsa_uses_dynamic_stack 0
		.amdhsa_enable_private_segment 0
		.amdhsa_system_sgpr_workgroup_id_x 1
		.amdhsa_system_sgpr_workgroup_id_y 0
		.amdhsa_system_sgpr_workgroup_id_z 0
		.amdhsa_system_sgpr_workgroup_info 0
		.amdhsa_system_vgpr_workitem_id 2
		.amdhsa_next_free_vgpr 34
		.amdhsa_next_free_sgpr 40
		.amdhsa_accum_offset 36
		.amdhsa_reserve_vcc 1
		.amdhsa_float_round_mode_32 0
		.amdhsa_float_round_mode_16_64 0
		.amdhsa_float_denorm_mode_32 3
		.amdhsa_float_denorm_mode_16_64 3
		.amdhsa_dx10_clamp 1
		.amdhsa_ieee_mode 1
		.amdhsa_fp16_overflow 0
		.amdhsa_tg_split 0
		.amdhsa_exception_fp_ieee_invalid_op 0
		.amdhsa_exception_fp_denorm_src 0
		.amdhsa_exception_fp_ieee_div_zero 0
		.amdhsa_exception_fp_ieee_overflow 0
		.amdhsa_exception_fp_ieee_underflow 0
		.amdhsa_exception_fp_ieee_inexact 0
		.amdhsa_exception_int_div_zero 0
	.end_amdhsa_kernel
	.section	.text._Z6kernelI9histogramILN6hipcub23BlockHistogramAlgorithmE1EEiLj256ELj1ELj256ELj100EEvPKT0_PS4_,"axG",@progbits,_Z6kernelI9histogramILN6hipcub23BlockHistogramAlgorithmE1EEiLj256ELj1ELj256ELj100EEvPKT0_PS4_,comdat
.Lfunc_end30:
	.size	_Z6kernelI9histogramILN6hipcub23BlockHistogramAlgorithmE1EEiLj256ELj1ELj256ELj100EEvPKT0_PS4_, .Lfunc_end30-_Z6kernelI9histogramILN6hipcub23BlockHistogramAlgorithmE1EEiLj256ELj1ELj256ELj100EEvPKT0_PS4_
                                        ; -- End function
	.section	.AMDGPU.csdata,"",@progbits
; Kernel info:
; codeLenInByte = 4308
; NumSgprs: 46
; NumVgprs: 34
; NumAgprs: 0
; TotalNumVgprs: 34
; ScratchSize: 0
; MemoryBound: 0
; FloatMode: 240
; IeeeMode: 1
; LDSByteSize: 5136 bytes/workgroup (compile time only)
; SGPRBlocks: 5
; VGPRBlocks: 4
; NumSGPRsForWavesPerEU: 46
; NumVGPRsForWavesPerEU: 34
; AccumOffset: 36
; Occupancy: 8
; WaveLimiterHint : 0
; COMPUTE_PGM_RSRC2:SCRATCH_EN: 0
; COMPUTE_PGM_RSRC2:USER_SGPR: 2
; COMPUTE_PGM_RSRC2:TRAP_HANDLER: 0
; COMPUTE_PGM_RSRC2:TGID_X_EN: 1
; COMPUTE_PGM_RSRC2:TGID_Y_EN: 0
; COMPUTE_PGM_RSRC2:TGID_Z_EN: 0
; COMPUTE_PGM_RSRC2:TIDIG_COMP_CNT: 2
; COMPUTE_PGM_RSRC3_GFX90A:ACCUM_OFFSET: 8
; COMPUTE_PGM_RSRC3_GFX90A:TG_SPLIT: 0
	.section	.text._Z6kernelI9histogramILN6hipcub23BlockHistogramAlgorithmE1EEiLj256ELj2ELj256ELj100EEvPKT0_PS4_,"axG",@progbits,_Z6kernelI9histogramILN6hipcub23BlockHistogramAlgorithmE1EEiLj256ELj2ELj256ELj100EEvPKT0_PS4_,comdat
	.protected	_Z6kernelI9histogramILN6hipcub23BlockHistogramAlgorithmE1EEiLj256ELj2ELj256ELj100EEvPKT0_PS4_ ; -- Begin function _Z6kernelI9histogramILN6hipcub23BlockHistogramAlgorithmE1EEiLj256ELj2ELj256ELj100EEvPKT0_PS4_
	.globl	_Z6kernelI9histogramILN6hipcub23BlockHistogramAlgorithmE1EEiLj256ELj2ELj256ELj100EEvPKT0_PS4_
	.p2align	8
	.type	_Z6kernelI9histogramILN6hipcub23BlockHistogramAlgorithmE1EEiLj256ELj2ELj256ELj100EEvPKT0_PS4_,@function
_Z6kernelI9histogramILN6hipcub23BlockHistogramAlgorithmE1EEiLj256ELj2ELj256ELj100EEvPKT0_PS4_: ; @_Z6kernelI9histogramILN6hipcub23BlockHistogramAlgorithmE1EEiLj256ELj2ELj256ELj100EEvPKT0_PS4_
; %bb.0:
	s_load_dwordx4 s[36:39], s[0:1], 0x0
	s_load_dword s3, s[0:1], 0x1c
	v_and_b32_e32 v4, 0x3ff, v0
	v_lshlrev_b32_e32 v5, 1, v4
	v_lshl_or_b32 v6, s2, 9, v5
	s_waitcnt lgkmcnt(0)
	v_mov_b32_e32 v2, s36
	v_mov_b32_e32 v3, s37
	;; [unrolled: 1-line block ×3, first 2 shown]
	v_lshl_add_u64 v[2:3], v[6:7], 2, v[2:3]
	global_load_dwordx2 v[2:3], v[2:3], off
	v_mbcnt_lo_u32_b32 v1, -1, 0
	v_mbcnt_hi_u32_b32 v6, -1, v1
	v_and_b32_e32 v8, 1, v6
	v_lshrrev_b32_e32 v1, 1, v6
	v_cmp_eq_u32_e64 s[34:35], 0, v8
	v_and_b32_e32 v8, 64, v6
	v_or_b32_e32 v1, v1, v8
	v_lshlrev_b32_e32 v12, 2, v1
	s_lshr_b32 s4, s3, 16
	v_bfe_u32 v1, v0, 10, 10
	v_bfe_u32 v0, v0, 20, 10
	s_and_b32 s3, s3, 0xffff
	v_mad_u32_u24 v0, v0, s4, v1
	v_mad_u64_u32 v[0:1], s[4:5], v0, s3, v[4:5]
	v_lshrrev_b32_e32 v15, 6, v0
	v_and_b32_e32 v0, 15, v6
	v_cmp_eq_u32_e64 s[4:5], 0, v0
	v_cmp_lt_u32_e64 s[6:7], 1, v0
	v_cmp_lt_u32_e64 s[8:9], 3, v0
	;; [unrolled: 1-line block ×3, first 2 shown]
	v_and_b32_e32 v0, 16, v6
	v_cmp_eq_u32_e64 s[12:13], 0, v0
	v_or_b32_e32 v0, 63, v4
	v_cmp_eq_u32_e64 s[16:17], v0, v4
	v_add_u32_e32 v0, -1, v6
	v_cmp_lt_i32_e32 vcc, v0, v8
	s_mov_b32 s40, 0
	v_lshlrev_b32_e32 v14, 4, v4
	v_cndmask_b32_e32 v0, v0, v6, vcc
	v_lshlrev_b32_e32 v17, 2, v0
	v_lshrrev_b32_e32 v0, 4, v4
	v_and_b32_e32 v18, 12, v0
	v_and_b32_e32 v0, 3, v6
	s_movk_i32 s3, 0x180
	s_movk_i32 s0, 0x100
	v_lshlrev_b32_e32 v1, 2, v4
	v_mad_i32_i24 v19, v4, -12, v14
	v_cmp_eq_u32_e64 s[28:29], 0, v0
	v_cmp_lt_u32_e64 s[30:31], 1, v0
	v_and_or_b32 v0, v5, s3, v6
	s_mov_b32 s41, s40
	s_mov_b32 s36, s40
	;; [unrolled: 1-line block ×3, first 2 shown]
	v_cmp_gt_u32_e64 s[0:1], s0, v4
	v_xor_b32_e32 v13, 0x80, v12
	v_cmp_lt_u32_e64 s[14:15], 31, v6
	v_cmp_gt_u32_e64 s[18:19], 4, v4
	v_cmp_lt_u32_e64 s[20:21], 63, v4
	v_cmp_eq_u32_e64 s[22:23], 0, v6
	v_cmp_eq_u32_e64 s[24:25], 0, v4
	v_cmp_ne_u32_e64 s[26:27], 0, v4
	v_add_u32_e32 v20, -4, v18
	v_lshlrev_b32_e32 v21, 2, v0
	v_add_u32_e32 v22, v19, v1
	v_or_b32_e32 v23, 1, v5
	v_add_u32_e32 v16, 0x1010, v1
	v_add_u32_e32 v24, -4, v19
	v_mov_b64_e32 v[8:9], s[40:41]
	v_mov_b64_e32 v[10:11], s[36:37]
	v_mov_b32_e32 v25, 0x200
	s_branch .LBB31_2
.LBB31_1:                               ;   in Loop: Header=BB31_2 Depth=1
	s_or_b64 exec, exec, s[36:37]
	s_add_i32 s40, s40, 1
	s_cmpk_eq_i32 s40, 0x64
	s_cbranch_scc1 .LBB31_29
.LBB31_2:                               ; =>This Loop Header: Depth=1
                                        ;     Child Loop BB31_6 Depth 2
	s_and_saveexec_b64 s[36:37], s[0:1]
	s_cbranch_execz .LBB31_4
; %bb.3:                                ;   in Loop: Header=BB31_2 Depth=1
	ds_write_b32 v16, v7
.LBB31_4:                               ;   in Loop: Header=BB31_2 Depth=1
	s_or_b64 exec, exec, s[36:37]
	s_waitcnt vmcnt(0)
	v_xor_b32_e32 v0, 0x80000000, v2
	v_xor_b32_e32 v1, 0x80000000, v3
	ds_bpermute_b32 v2, v12, v0
	ds_bpermute_b32 v3, v12, v1
	;; [unrolled: 1-line block ×4, first 2 shown]
	s_mov_b32 s3, 0
	s_waitcnt lgkmcnt(0)
	v_cndmask_b32_e64 v0, v3, v2, s[34:35]
	s_barrier
	v_cndmask_b32_e64 v1, v1, v6, s[34:35]
	s_barrier
	s_branch .LBB31_6
.LBB31_5:                               ;   in Loop: Header=BB31_6 Depth=2
	v_lshlrev_b32_e32 v0, 2, v3
	s_barrier
	ds_write_b32 v0, v27
	v_lshlrev_b32_e32 v0, 2, v2
	ds_write_b32 v0, v26
	s_waitcnt lgkmcnt(0)
	s_barrier
	ds_read2st64_b32 v[0:1], v21 offset1:1
	s_add_i32 s3, s3, 8
	s_waitcnt lgkmcnt(0)
	s_barrier
	s_cbranch_execz .LBB31_18
.LBB31_6:                               ;   Parent Loop BB31_2 Depth=1
                                        ; =>  This Inner Loop Header: Depth=2
	v_mov_b32_e32 v27, v0
	v_bfe_u32 v0, v27, s3, 8
	v_lshl_add_u32 v0, v0, 2, v15
	v_bfe_u32 v6, v27, s3, 1
	v_mov_b32_e32 v26, v1
	v_lshl_add_u32 v28, v0, 2, 16
	v_lshl_add_u64 v[0:1], v[6:7], 0, -1
	v_cmp_ne_u32_e32 vcc, 0, v6
	v_lshrrev_b32_e32 v2, s3, v27
	s_nop 0
	v_xor_b32_e32 v1, vcc_hi, v1
	v_xor_b32_e32 v0, vcc_lo, v0
	v_and_b32_e32 v3, exec_hi, v1
	v_and_b32_e32 v6, exec_lo, v0
	v_lshlrev_b32_e32 v1, 30, v2
	v_mov_b32_e32 v0, v7
	v_cmp_gt_i64_e32 vcc, 0, v[0:1]
	v_not_b32_e32 v0, v1
	v_ashrrev_i32_e32 v0, 31, v0
	v_xor_b32_e32 v1, vcc_hi, v0
	v_xor_b32_e32 v0, vcc_lo, v0
	v_and_b32_e32 v3, v3, v1
	v_and_b32_e32 v6, v6, v0
	v_lshlrev_b32_e32 v1, 29, v2
	v_mov_b32_e32 v0, v7
	v_cmp_gt_i64_e32 vcc, 0, v[0:1]
	v_not_b32_e32 v0, v1
	v_ashrrev_i32_e32 v0, 31, v0
	v_xor_b32_e32 v1, vcc_hi, v0
	v_xor_b32_e32 v0, vcc_lo, v0
	v_and_b32_e32 v3, v3, v1
	v_and_b32_e32 v6, v6, v0
	;; [unrolled: 9-line block ×7, first 2 shown]
	v_mbcnt_lo_u32_b32 v2, v0, 0
	v_mbcnt_hi_u32_b32 v29, v1, v2
	v_cmp_eq_u32_e32 vcc, 0, v29
	v_cmp_ne_u64_e64 s[36:37], 0, v[0:1]
	s_and_b64 s[42:43], s[36:37], vcc
	ds_write2_b64 v14, v[8:9], v[10:11] offset0:2 offset1:3
	s_waitcnt lgkmcnt(0)
	s_barrier
	s_waitcnt lgkmcnt(0)
	; wave barrier
	s_and_saveexec_b64 s[36:37], s[42:43]
	s_cbranch_execz .LBB31_8
; %bb.7:                                ;   in Loop: Header=BB31_6 Depth=2
	v_bcnt_u32_b32 v0, v0, 0
	v_bcnt_u32_b32 v0, v1, v0
	ds_write_b32 v28, v0
.LBB31_8:                               ;   in Loop: Header=BB31_6 Depth=2
	s_or_b64 exec, exec, s[36:37]
	v_bfe_u32 v0, v26, s3, 8
	v_lshlrev_b32_e32 v0, 2, v0
	v_add_lshl_u32 v0, v0, v15, 2
	v_bfe_u32 v6, v26, s3, 1
	; wave barrier
	v_add_u32_e32 v31, 16, v0
	ds_read_b32 v30, v0 offset:16
	v_lshl_add_u64 v[0:1], v[6:7], 0, -1
	v_cmp_ne_u32_e32 vcc, 0, v6
	v_lshrrev_b32_e32 v2, s3, v26
	s_nop 0
	v_xor_b32_e32 v1, vcc_hi, v1
	v_xor_b32_e32 v0, vcc_lo, v0
	v_and_b32_e32 v3, exec_hi, v1
	v_and_b32_e32 v6, exec_lo, v0
	v_lshlrev_b32_e32 v1, 30, v2
	v_mov_b32_e32 v0, v7
	v_cmp_gt_i64_e32 vcc, 0, v[0:1]
	v_not_b32_e32 v0, v1
	v_ashrrev_i32_e32 v0, 31, v0
	v_xor_b32_e32 v1, vcc_hi, v0
	v_xor_b32_e32 v0, vcc_lo, v0
	v_and_b32_e32 v3, v3, v1
	v_and_b32_e32 v6, v6, v0
	v_lshlrev_b32_e32 v1, 29, v2
	v_mov_b32_e32 v0, v7
	v_cmp_gt_i64_e32 vcc, 0, v[0:1]
	v_not_b32_e32 v0, v1
	v_ashrrev_i32_e32 v0, 31, v0
	v_xor_b32_e32 v1, vcc_hi, v0
	v_xor_b32_e32 v0, vcc_lo, v0
	v_and_b32_e32 v3, v3, v1
	v_and_b32_e32 v6, v6, v0
	;; [unrolled: 9-line block ×7, first 2 shown]
	v_mbcnt_lo_u32_b32 v2, v0, 0
	v_mbcnt_hi_u32_b32 v6, v1, v2
	v_cmp_eq_u32_e32 vcc, 0, v6
	v_cmp_ne_u64_e64 s[36:37], 0, v[0:1]
	s_and_b64 s[42:43], s[36:37], vcc
	; wave barrier
	s_and_saveexec_b64 s[36:37], s[42:43]
	s_cbranch_execz .LBB31_10
; %bb.9:                                ;   in Loop: Header=BB31_6 Depth=2
	v_bcnt_u32_b32 v0, v0, 0
	v_bcnt_u32_b32 v0, v1, v0
	s_waitcnt lgkmcnt(0)
	v_add_u32_e32 v0, v30, v0
	ds_write_b32 v31, v0
.LBB31_10:                              ;   in Loop: Header=BB31_6 Depth=2
	s_or_b64 exec, exec, s[36:37]
	; wave barrier
	s_waitcnt lgkmcnt(0)
	s_barrier
	ds_read2_b64 v[0:3], v14 offset0:2 offset1:3
	s_waitcnt lgkmcnt(0)
	v_add_u32_e32 v32, v1, v0
	v_add3_u32 v3, v32, v2, v3
	s_nop 1
	v_mov_b32_dpp v32, v3 row_shr:1 row_mask:0xf bank_mask:0xf
	v_cndmask_b32_e64 v32, v32, 0, s[4:5]
	v_add_u32_e32 v3, v32, v3
	s_nop 1
	v_mov_b32_dpp v32, v3 row_shr:2 row_mask:0xf bank_mask:0xf
	v_cndmask_b32_e64 v32, 0, v32, s[6:7]
	v_add_u32_e32 v3, v3, v32
	;; [unrolled: 4-line block ×4, first 2 shown]
	s_nop 1
	v_mov_b32_dpp v32, v3 row_bcast:15 row_mask:0xf bank_mask:0xf
	v_cndmask_b32_e64 v32, v32, 0, s[12:13]
	v_add_u32_e32 v3, v3, v32
	s_nop 1
	v_mov_b32_dpp v32, v3 row_bcast:31 row_mask:0xf bank_mask:0xf
	v_cndmask_b32_e64 v32, 0, v32, s[14:15]
	v_add_u32_e32 v3, v3, v32
	s_and_saveexec_b64 s[36:37], s[16:17]
	s_cbranch_execz .LBB31_12
; %bb.11:                               ;   in Loop: Header=BB31_6 Depth=2
	ds_write_b32 v18, v3
.LBB31_12:                              ;   in Loop: Header=BB31_6 Depth=2
	s_or_b64 exec, exec, s[36:37]
	s_waitcnt lgkmcnt(0)
	s_barrier
	s_and_saveexec_b64 s[36:37], s[18:19]
	s_cbranch_execz .LBB31_14
; %bb.13:                               ;   in Loop: Header=BB31_6 Depth=2
	ds_read_b32 v32, v19
	s_waitcnt lgkmcnt(0)
	s_nop 0
	v_mov_b32_dpp v33, v32 row_shr:1 row_mask:0xf bank_mask:0xf
	v_cndmask_b32_e64 v33, v33, 0, s[28:29]
	v_add_u32_e32 v32, v33, v32
	s_nop 1
	v_mov_b32_dpp v33, v32 row_shr:2 row_mask:0xf bank_mask:0xf
	v_cndmask_b32_e64 v33, 0, v33, s[30:31]
	v_add_u32_e32 v32, v32, v33
	ds_write_b32 v19, v32
.LBB31_14:                              ;   in Loop: Header=BB31_6 Depth=2
	s_or_b64 exec, exec, s[36:37]
	v_mov_b32_e32 v32, 0
	s_waitcnt lgkmcnt(0)
	s_barrier
	s_and_saveexec_b64 s[36:37], s[20:21]
	s_cbranch_execz .LBB31_16
; %bb.15:                               ;   in Loop: Header=BB31_6 Depth=2
	ds_read_b32 v32, v20
.LBB31_16:                              ;   in Loop: Header=BB31_6 Depth=2
	s_or_b64 exec, exec, s[36:37]
	s_waitcnt lgkmcnt(0)
	v_add_u32_e32 v3, v32, v3
	ds_bpermute_b32 v3, v17, v3
	s_cmp_gt_u32 s3, 23
	s_waitcnt lgkmcnt(0)
	v_cndmask_b32_e64 v3, v3, v32, s[22:23]
	v_cndmask_b32_e64 v32, v3, 0, s[24:25]
	v_add_u32_e32 v33, v32, v0
	v_add_u32_e32 v0, v33, v1
	;; [unrolled: 1-line block ×3, first 2 shown]
	ds_write2_b64 v14, v[32:33], v[0:1] offset0:2 offset1:3
	s_waitcnt lgkmcnt(0)
	s_barrier
	ds_read_b32 v0, v28
	ds_read_b32 v1, v31
	s_waitcnt lgkmcnt(1)
	v_add_u32_e32 v3, v0, v29
	s_waitcnt lgkmcnt(0)
	v_add3_u32 v2, v6, v30, v1
	s_cbranch_scc0 .LBB31_5
; %bb.17:                               ;   in Loop: Header=BB31_2 Depth=1
                                        ; implicit-def: $vgpr1
                                        ; implicit-def: $sgpr3
.LBB31_18:                              ;   in Loop: Header=BB31_2 Depth=1
	v_lshlrev_b32_e32 v0, 2, v3
	s_barrier
	ds_write_b32 v0, v27
	v_lshlrev_b32_e32 v0, 2, v2
	ds_write_b32 v0, v26
	s_waitcnt lgkmcnt(0)
	s_barrier
	ds_read_b64 v[0:1], v22
	s_waitcnt lgkmcnt(0)
	s_barrier
	s_and_saveexec_b64 s[36:37], s[0:1]
	s_cbranch_execz .LBB31_20
; %bb.19:                               ;   in Loop: Header=BB31_2 Depth=1
	ds_write2st64_b32 v19, v25, v25 offset0:8 offset1:12
.LBB31_20:                              ;   in Loop: Header=BB31_2 Depth=1
	s_or_b64 exec, exec, s[36:37]
	v_xor_b32_e32 v2, 0x80000000, v0
	v_xor_b32_e32 v3, 0x80000000, v1
	v_cmp_ne_u32_e32 vcc, v0, v1
	v_lshlrev_b32_e32 v0, 2, v2
	s_waitcnt lgkmcnt(0)
	s_barrier
	ds_write_b32 v19, v3
	s_and_saveexec_b64 s[36:37], vcc
	s_cbranch_execz .LBB31_22
; %bb.21:                               ;   in Loop: Header=BB31_2 Depth=1
	v_lshlrev_b32_e32 v1, 2, v3
	ds_write_b32 v1, v23 offset:2048
	ds_write_b32 v0, v23 offset:3072
.LBB31_22:                              ;   in Loop: Header=BB31_2 Depth=1
	s_or_b64 exec, exec, s[36:37]
	s_waitcnt lgkmcnt(0)
	s_barrier
	s_and_saveexec_b64 s[36:37], s[26:27]
	s_cbranch_execz .LBB31_25
; %bb.23:                               ;   in Loop: Header=BB31_2 Depth=1
	ds_read_b32 v1, v24
	s_waitcnt lgkmcnt(0)
	v_cmp_ne_u32_e32 vcc, v1, v2
	s_and_b64 exec, exec, vcc
	s_cbranch_execz .LBB31_25
; %bb.24:                               ;   in Loop: Header=BB31_2 Depth=1
	ds_write_b32 v0, v5 offset:2048
	ds_read_b32 v1, v24
	s_waitcnt lgkmcnt(0)
	v_lshlrev_b32_e32 v1, 2, v1
	ds_write_b32 v1, v5 offset:3072
.LBB31_25:                              ;   in Loop: Header=BB31_2 Depth=1
	s_or_b64 exec, exec, s[36:37]
	s_waitcnt lgkmcnt(0)
	s_barrier
	s_and_saveexec_b64 s[36:37], s[24:25]
	s_cbranch_execz .LBB31_27
; %bb.26:                               ;   in Loop: Header=BB31_2 Depth=1
	ds_write_b32 v0, v7 offset:2048
.LBB31_27:                              ;   in Loop: Header=BB31_2 Depth=1
	s_or_b64 exec, exec, s[36:37]
	s_waitcnt lgkmcnt(0)
	s_barrier
	s_and_saveexec_b64 s[36:37], s[0:1]
	s_cbranch_execz .LBB31_1
; %bb.28:                               ;   in Loop: Header=BB31_2 Depth=1
	ds_read2st64_b32 v[0:1], v19 offset0:8 offset1:12
	ds_read_b32 v6, v16
	s_waitcnt lgkmcnt(1)
	v_sub_u32_e32 v0, v1, v0
	s_waitcnt lgkmcnt(0)
	v_add_u32_e32 v0, v0, v6
	ds_write_b32 v16, v0
	s_branch .LBB31_1
.LBB31_29:
	s_and_saveexec_b64 s[4:5], s[0:1]
	s_cbranch_execz .LBB31_31
; %bb.30:
	ds_read_b32 v5, v16
	v_mov_b32_e32 v0, s38
	v_mov_b32_e32 v1, s39
	v_lshl_or_b32 v2, s2, 8, v4
	v_mov_b32_e32 v3, 0
	v_lshl_add_u64 v[0:1], v[2:3], 2, v[0:1]
	s_waitcnt lgkmcnt(0)
	global_store_dword v[0:1], v5, off
.LBB31_31:
	s_endpgm
	.section	.rodata,"a",@progbits
	.p2align	6, 0x0
	.amdhsa_kernel _Z6kernelI9histogramILN6hipcub23BlockHistogramAlgorithmE1EEiLj256ELj2ELj256ELj100EEvPKT0_PS4_
		.amdhsa_group_segment_fixed_size 5136
		.amdhsa_private_segment_fixed_size 0
		.amdhsa_kernarg_size 272
		.amdhsa_user_sgpr_count 2
		.amdhsa_user_sgpr_dispatch_ptr 0
		.amdhsa_user_sgpr_queue_ptr 0
		.amdhsa_user_sgpr_kernarg_segment_ptr 1
		.amdhsa_user_sgpr_dispatch_id 0
		.amdhsa_user_sgpr_kernarg_preload_length 0
		.amdhsa_user_sgpr_kernarg_preload_offset 0
		.amdhsa_user_sgpr_private_segment_size 0
		.amdhsa_uses_dynamic_stack 0
		.amdhsa_enable_private_segment 0
		.amdhsa_system_sgpr_workgroup_id_x 1
		.amdhsa_system_sgpr_workgroup_id_y 0
		.amdhsa_system_sgpr_workgroup_id_z 0
		.amdhsa_system_sgpr_workgroup_info 0
		.amdhsa_system_vgpr_workitem_id 2
		.amdhsa_next_free_vgpr 34
		.amdhsa_next_free_sgpr 44
		.amdhsa_accum_offset 36
		.amdhsa_reserve_vcc 1
		.amdhsa_float_round_mode_32 0
		.amdhsa_float_round_mode_16_64 0
		.amdhsa_float_denorm_mode_32 3
		.amdhsa_float_denorm_mode_16_64 3
		.amdhsa_dx10_clamp 1
		.amdhsa_ieee_mode 1
		.amdhsa_fp16_overflow 0
		.amdhsa_tg_split 0
		.amdhsa_exception_fp_ieee_invalid_op 0
		.amdhsa_exception_fp_denorm_src 0
		.amdhsa_exception_fp_ieee_div_zero 0
		.amdhsa_exception_fp_ieee_overflow 0
		.amdhsa_exception_fp_ieee_underflow 0
		.amdhsa_exception_fp_ieee_inexact 0
		.amdhsa_exception_int_div_zero 0
	.end_amdhsa_kernel
	.section	.text._Z6kernelI9histogramILN6hipcub23BlockHistogramAlgorithmE1EEiLj256ELj2ELj256ELj100EEvPKT0_PS4_,"axG",@progbits,_Z6kernelI9histogramILN6hipcub23BlockHistogramAlgorithmE1EEiLj256ELj2ELj256ELj100EEvPKT0_PS4_,comdat
.Lfunc_end31:
	.size	_Z6kernelI9histogramILN6hipcub23BlockHistogramAlgorithmE1EEiLj256ELj2ELj256ELj100EEvPKT0_PS4_, .Lfunc_end31-_Z6kernelI9histogramILN6hipcub23BlockHistogramAlgorithmE1EEiLj256ELj2ELj256ELj100EEvPKT0_PS4_
                                        ; -- End function
	.section	.AMDGPU.csdata,"",@progbits
; Kernel info:
; codeLenInByte = 2220
; NumSgprs: 50
; NumVgprs: 34
; NumAgprs: 0
; TotalNumVgprs: 34
; ScratchSize: 0
; MemoryBound: 0
; FloatMode: 240
; IeeeMode: 1
; LDSByteSize: 5136 bytes/workgroup (compile time only)
; SGPRBlocks: 6
; VGPRBlocks: 4
; NumSGPRsForWavesPerEU: 50
; NumVGPRsForWavesPerEU: 34
; AccumOffset: 36
; Occupancy: 8
; WaveLimiterHint : 0
; COMPUTE_PGM_RSRC2:SCRATCH_EN: 0
; COMPUTE_PGM_RSRC2:USER_SGPR: 2
; COMPUTE_PGM_RSRC2:TRAP_HANDLER: 0
; COMPUTE_PGM_RSRC2:TGID_X_EN: 1
; COMPUTE_PGM_RSRC2:TGID_Y_EN: 0
; COMPUTE_PGM_RSRC2:TGID_Z_EN: 0
; COMPUTE_PGM_RSRC2:TIDIG_COMP_CNT: 2
; COMPUTE_PGM_RSRC3_GFX90A:ACCUM_OFFSET: 8
; COMPUTE_PGM_RSRC3_GFX90A:TG_SPLIT: 0
	.section	.text._Z6kernelI9histogramILN6hipcub23BlockHistogramAlgorithmE1EEiLj256ELj3ELj256ELj100EEvPKT0_PS4_,"axG",@progbits,_Z6kernelI9histogramILN6hipcub23BlockHistogramAlgorithmE1EEiLj256ELj3ELj256ELj100EEvPKT0_PS4_,comdat
	.protected	_Z6kernelI9histogramILN6hipcub23BlockHistogramAlgorithmE1EEiLj256ELj3ELj256ELj100EEvPKT0_PS4_ ; -- Begin function _Z6kernelI9histogramILN6hipcub23BlockHistogramAlgorithmE1EEiLj256ELj3ELj256ELj100EEvPKT0_PS4_
	.globl	_Z6kernelI9histogramILN6hipcub23BlockHistogramAlgorithmE1EEiLj256ELj3ELj256ELj100EEvPKT0_PS4_
	.p2align	8
	.type	_Z6kernelI9histogramILN6hipcub23BlockHistogramAlgorithmE1EEiLj256ELj3ELj256ELj100EEvPKT0_PS4_,@function
_Z6kernelI9histogramILN6hipcub23BlockHistogramAlgorithmE1EEiLj256ELj3ELj256ELj100EEvPKT0_PS4_: ; @_Z6kernelI9histogramILN6hipcub23BlockHistogramAlgorithmE1EEiLj256ELj3ELj256ELj100EEvPKT0_PS4_
; %bb.0:
	s_load_dwordx4 s[36:39], s[0:1], 0x0
	s_load_dword s3, s[0:1], 0x1c
	s_lshl_b32 s0, s2, 8
	v_and_b32_e32 v8, 0x3ff, v0
	v_or_b32_e32 v4, s0, v8
	v_lshl_add_u32 v6, v4, 1, v4
	v_mov_b32_e32 v7, 0
	s_waitcnt lgkmcnt(0)
	v_lshl_add_u64 v[10:11], v[6:7], 2, s[36:37]
	v_add_u32_e32 v2, 1, v6
	v_mov_b32_e32 v3, v7
	v_add_u32_e32 v6, 2, v6
	v_lshl_add_u64 v[12:13], v[2:3], 2, s[36:37]
	v_lshl_add_u64 v[14:15], v[6:7], 2, s[36:37]
	global_load_dword v2, v[10:11], off
	global_load_dword v3, v[12:13], off
	;; [unrolled: 1-line block ×3, first 2 shown]
	v_mbcnt_lo_u32_b32 v1, -1, 0
	v_lshrrev_b32_e32 v10, 6, v8
	v_mbcnt_hi_u32_b32 v9, -1, v1
	v_mul_u32_u24_e32 v1, 0xc0, v10
	v_lshlrev_b32_e32 v5, 2, v1
	v_add_lshl_u32 v12, v9, v1, 2
	s_lshr_b32 s2, s3, 16
	v_bfe_u32 v1, v0, 10, 10
	v_bfe_u32 v0, v0, 20, 10
	s_and_b32 s3, s3, 0xffff
	v_mad_u32_u24 v0, v0, s2, v1
	v_mad_u64_u32 v[0:1], s[2:3], v0, s3, v[8:9]
	v_lshrrev_b32_e32 v14, 6, v0
	v_and_b32_e32 v0, 15, v9
	v_cmp_eq_u32_e64 s[2:3], 0, v0
	v_cmp_lt_u32_e64 s[4:5], 1, v0
	v_cmp_lt_u32_e64 s[6:7], 3, v0
	;; [unrolled: 1-line block ×3, first 2 shown]
	v_and_b32_e32 v0, 16, v9
	v_cmp_eq_u32_e64 s[10:11], 0, v0
	v_or_b32_e32 v0, 63, v8
	v_cmp_eq_u32_e64 s[14:15], v0, v8
	v_add_u32_e32 v0, -1, v9
	v_and_b32_e32 v1, 64, v9
	v_cmp_lt_i32_e32 vcc, v0, v1
	s_mov_b32 s34, 0
	v_lshlrev_b32_e32 v13, 4, v8
	v_cndmask_b32_e32 v0, v0, v9, vcc
	v_lshlrev_b32_e32 v16, 2, v0
	v_and_b32_e32 v0, 3, v9
	s_movk_i32 s0, 0x100
	v_lshlrev_b32_e32 v17, 2, v10
	v_mad_i32_i24 v18, v8, -12, v13
	v_cmp_eq_u32_e64 s[26:27], 0, v0
	v_cmp_lt_u32_e64 s[28:29], 1, v0
	v_mov_b32_e32 v0, 0x1010
	s_mov_b32 s35, s34
	s_mov_b32 s30, s34
	;; [unrolled: 1-line block ×3, first 2 shown]
	v_cmp_gt_u32_e64 s[0:1], s0, v8
	v_mad_u32_u24 v5, v9, 12, v5
	v_cmp_lt_u32_e64 s[12:13], 31, v9
	v_cmp_gt_u32_e64 s[16:17], 4, v8
	v_cmp_lt_u32_e64 s[18:19], 63, v8
	v_cmp_eq_u32_e64 s[20:21], 0, v9
	v_cmp_eq_u32_e64 s[22:23], 0, v8
	v_cmp_ne_u32_e64 s[24:25], 0, v8
	v_add_u32_e32 v19, -4, v17
	v_mul_u32_u24_e32 v20, 3, v8
	v_lshl_add_u32 v21, v8, 3, v18
	v_mad_u32_u24 v22, v8, 3, 1
	v_mad_u32_u24 v23, v8, 3, 2
	v_lshl_add_u32 v15, v8, 2, v0
	v_add_u32_e32 v24, -4, v18
	v_mov_b64_e32 v[8:9], s[34:35]
	v_mov_b64_e32 v[10:11], s[30:31]
	v_mov_b32_e32 v25, 0x300
	s_branch .LBB32_2
.LBB32_1:                               ;   in Loop: Header=BB32_2 Depth=1
	s_or_b64 exec, exec, s[30:31]
	s_add_i32 s34, s34, 1
	s_cmpk_eq_i32 s34, 0x64
	s_cbranch_scc1 .LBB32_33
.LBB32_2:                               ; =>This Loop Header: Depth=1
                                        ;     Child Loop BB32_6 Depth 2
	s_and_saveexec_b64 s[30:31], s[0:1]
	s_cbranch_execz .LBB32_4
; %bb.3:                                ;   in Loop: Header=BB32_2 Depth=1
	ds_write_b32 v15, v7
.LBB32_4:                               ;   in Loop: Header=BB32_2 Depth=1
	s_or_b64 exec, exec, s[30:31]
	s_waitcnt vmcnt(0)
	v_xor_b32_e32 v0, 0x80000000, v6
	v_xor_b32_e32 v1, 0x80000000, v3
	;; [unrolled: 1-line block ×3, first 2 shown]
	s_waitcnt lgkmcnt(0)
	s_barrier
	ds_write2_b32 v5, v2, v1 offset1:1
	ds_write_b32 v5, v0 offset:8
	; wave barrier
	ds_read2st64_b32 v[0:1], v12 offset1:1
	ds_read_b32 v6, v12 offset:512
	s_mov_b32 s33, 0
	s_waitcnt lgkmcnt(0)
	s_barrier
	s_waitcnt lgkmcnt(0)
	; wave barrier
	s_barrier
	s_branch .LBB32_6
.LBB32_5:                               ;   in Loop: Header=BB32_6 Depth=2
	v_lshlrev_b32_e32 v0, 2, v29
	s_barrier
	ds_write_b32 v0, v28
	v_lshlrev_b32_e32 v0, 2, v3
	ds_write_b32 v0, v27
	v_lshlrev_b32_e32 v0, 2, v2
	ds_write_b32 v0, v26
	s_waitcnt lgkmcnt(0)
	s_barrier
	ds_read2st64_b32 v[0:1], v12 offset1:1
	ds_read_b32 v6, v12 offset:512
	s_add_i32 s33, s33, 8
	s_waitcnt lgkmcnt(0)
	s_barrier
	s_cbranch_execz .LBB32_20
.LBB32_6:                               ;   Parent Loop BB32_2 Depth=1
                                        ; =>  This Inner Loop Header: Depth=2
	v_mov_b32_e32 v28, v0
	v_bfe_u32 v0, v28, s33, 8
	v_mov_b32_e32 v26, v6
	v_lshl_add_u32 v0, v0, 2, v14
	v_bfe_u32 v6, v28, s33, 1
	v_mov_b32_e32 v27, v1
	v_lshl_add_u32 v29, v0, 2, 16
	v_lshl_add_u64 v[0:1], v[6:7], 0, -1
	v_cmp_ne_u32_e32 vcc, 0, v6
	v_lshrrev_b32_e32 v2, s33, v28
	s_nop 0
	v_xor_b32_e32 v1, vcc_hi, v1
	v_xor_b32_e32 v0, vcc_lo, v0
	v_and_b32_e32 v3, exec_hi, v1
	v_and_b32_e32 v6, exec_lo, v0
	v_lshlrev_b32_e32 v1, 30, v2
	v_mov_b32_e32 v0, v7
	v_cmp_gt_i64_e32 vcc, 0, v[0:1]
	v_not_b32_e32 v0, v1
	v_ashrrev_i32_e32 v0, 31, v0
	v_xor_b32_e32 v1, vcc_hi, v0
	v_xor_b32_e32 v0, vcc_lo, v0
	v_and_b32_e32 v3, v3, v1
	v_and_b32_e32 v6, v6, v0
	v_lshlrev_b32_e32 v1, 29, v2
	v_mov_b32_e32 v0, v7
	v_cmp_gt_i64_e32 vcc, 0, v[0:1]
	v_not_b32_e32 v0, v1
	v_ashrrev_i32_e32 v0, 31, v0
	v_xor_b32_e32 v1, vcc_hi, v0
	v_xor_b32_e32 v0, vcc_lo, v0
	v_and_b32_e32 v3, v3, v1
	v_and_b32_e32 v6, v6, v0
	;; [unrolled: 9-line block ×7, first 2 shown]
	v_mbcnt_lo_u32_b32 v2, v0, 0
	v_mbcnt_hi_u32_b32 v30, v1, v2
	v_cmp_eq_u32_e32 vcc, 0, v30
	v_cmp_ne_u64_e64 s[30:31], 0, v[0:1]
	s_and_b64 s[36:37], s[30:31], vcc
	ds_write2_b64 v13, v[8:9], v[10:11] offset0:2 offset1:3
	s_waitcnt lgkmcnt(0)
	s_barrier
	s_waitcnt lgkmcnt(0)
	; wave barrier
	s_and_saveexec_b64 s[30:31], s[36:37]
	s_cbranch_execz .LBB32_8
; %bb.7:                                ;   in Loop: Header=BB32_6 Depth=2
	v_bcnt_u32_b32 v0, v0, 0
	v_bcnt_u32_b32 v0, v1, v0
	ds_write_b32 v29, v0
.LBB32_8:                               ;   in Loop: Header=BB32_6 Depth=2
	s_or_b64 exec, exec, s[30:31]
	v_bfe_u32 v0, v27, s33, 8
	v_lshlrev_b32_e32 v0, 2, v0
	v_add_lshl_u32 v0, v0, v14, 2
	v_bfe_u32 v6, v27, s33, 1
	; wave barrier
	v_add_u32_e32 v32, 16, v0
	ds_read_b32 v31, v0 offset:16
	v_lshl_add_u64 v[0:1], v[6:7], 0, -1
	v_cmp_ne_u32_e32 vcc, 0, v6
	v_lshrrev_b32_e32 v2, s33, v27
	s_nop 0
	v_xor_b32_e32 v1, vcc_hi, v1
	v_xor_b32_e32 v0, vcc_lo, v0
	v_and_b32_e32 v3, exec_hi, v1
	v_and_b32_e32 v6, exec_lo, v0
	v_lshlrev_b32_e32 v1, 30, v2
	v_mov_b32_e32 v0, v7
	v_cmp_gt_i64_e32 vcc, 0, v[0:1]
	v_not_b32_e32 v0, v1
	v_ashrrev_i32_e32 v0, 31, v0
	v_xor_b32_e32 v1, vcc_hi, v0
	v_xor_b32_e32 v0, vcc_lo, v0
	v_and_b32_e32 v3, v3, v1
	v_and_b32_e32 v6, v6, v0
	v_lshlrev_b32_e32 v1, 29, v2
	v_mov_b32_e32 v0, v7
	v_cmp_gt_i64_e32 vcc, 0, v[0:1]
	v_not_b32_e32 v0, v1
	v_ashrrev_i32_e32 v0, 31, v0
	v_xor_b32_e32 v1, vcc_hi, v0
	v_xor_b32_e32 v0, vcc_lo, v0
	v_and_b32_e32 v3, v3, v1
	v_and_b32_e32 v6, v6, v0
	;; [unrolled: 9-line block ×7, first 2 shown]
	v_mbcnt_lo_u32_b32 v2, v0, 0
	v_mbcnt_hi_u32_b32 v33, v1, v2
	v_cmp_eq_u32_e32 vcc, 0, v33
	v_cmp_ne_u64_e64 s[30:31], 0, v[0:1]
	s_and_b64 s[36:37], s[30:31], vcc
	; wave barrier
	s_and_saveexec_b64 s[30:31], s[36:37]
	s_cbranch_execz .LBB32_10
; %bb.9:                                ;   in Loop: Header=BB32_6 Depth=2
	v_bcnt_u32_b32 v0, v0, 0
	v_bcnt_u32_b32 v0, v1, v0
	s_waitcnt lgkmcnt(0)
	v_add_u32_e32 v0, v31, v0
	ds_write_b32 v32, v0
.LBB32_10:                              ;   in Loop: Header=BB32_6 Depth=2
	s_or_b64 exec, exec, s[30:31]
	v_bfe_u32 v0, v26, s33, 8
	v_lshlrev_b32_e32 v0, 2, v0
	v_add_lshl_u32 v0, v0, v14, 2
	v_bfe_u32 v6, v26, s33, 1
	; wave barrier
	v_add_u32_e32 v35, 16, v0
	ds_read_b32 v34, v0 offset:16
	v_lshl_add_u64 v[0:1], v[6:7], 0, -1
	v_cmp_ne_u32_e32 vcc, 0, v6
	v_lshrrev_b32_e32 v2, s33, v26
	s_nop 0
	v_xor_b32_e32 v1, vcc_hi, v1
	v_xor_b32_e32 v0, vcc_lo, v0
	v_and_b32_e32 v3, exec_hi, v1
	v_and_b32_e32 v6, exec_lo, v0
	v_lshlrev_b32_e32 v1, 30, v2
	v_mov_b32_e32 v0, v7
	v_cmp_gt_i64_e32 vcc, 0, v[0:1]
	v_not_b32_e32 v0, v1
	v_ashrrev_i32_e32 v0, 31, v0
	v_xor_b32_e32 v1, vcc_hi, v0
	v_xor_b32_e32 v0, vcc_lo, v0
	v_and_b32_e32 v3, v3, v1
	v_and_b32_e32 v6, v6, v0
	v_lshlrev_b32_e32 v1, 29, v2
	v_mov_b32_e32 v0, v7
	v_cmp_gt_i64_e32 vcc, 0, v[0:1]
	v_not_b32_e32 v0, v1
	v_ashrrev_i32_e32 v0, 31, v0
	v_xor_b32_e32 v1, vcc_hi, v0
	v_xor_b32_e32 v0, vcc_lo, v0
	v_and_b32_e32 v3, v3, v1
	v_and_b32_e32 v6, v6, v0
	;; [unrolled: 9-line block ×7, first 2 shown]
	v_mbcnt_lo_u32_b32 v2, v0, 0
	v_mbcnt_hi_u32_b32 v6, v1, v2
	v_cmp_eq_u32_e32 vcc, 0, v6
	v_cmp_ne_u64_e64 s[30:31], 0, v[0:1]
	s_and_b64 s[36:37], s[30:31], vcc
	; wave barrier
	s_and_saveexec_b64 s[30:31], s[36:37]
	s_cbranch_execz .LBB32_12
; %bb.11:                               ;   in Loop: Header=BB32_6 Depth=2
	v_bcnt_u32_b32 v0, v0, 0
	v_bcnt_u32_b32 v0, v1, v0
	s_waitcnt lgkmcnt(0)
	v_add_u32_e32 v0, v34, v0
	ds_write_b32 v35, v0
.LBB32_12:                              ;   in Loop: Header=BB32_6 Depth=2
	s_or_b64 exec, exec, s[30:31]
	; wave barrier
	s_waitcnt lgkmcnt(0)
	s_barrier
	ds_read2_b64 v[0:3], v13 offset0:2 offset1:3
	s_waitcnt lgkmcnt(0)
	v_add_u32_e32 v36, v1, v0
	v_add3_u32 v3, v36, v2, v3
	s_nop 1
	v_mov_b32_dpp v36, v3 row_shr:1 row_mask:0xf bank_mask:0xf
	v_cndmask_b32_e64 v36, v36, 0, s[2:3]
	v_add_u32_e32 v3, v36, v3
	s_nop 1
	v_mov_b32_dpp v36, v3 row_shr:2 row_mask:0xf bank_mask:0xf
	v_cndmask_b32_e64 v36, 0, v36, s[4:5]
	v_add_u32_e32 v3, v3, v36
	;; [unrolled: 4-line block ×4, first 2 shown]
	s_nop 1
	v_mov_b32_dpp v36, v3 row_bcast:15 row_mask:0xf bank_mask:0xf
	v_cndmask_b32_e64 v36, v36, 0, s[10:11]
	v_add_u32_e32 v3, v3, v36
	s_nop 1
	v_mov_b32_dpp v36, v3 row_bcast:31 row_mask:0xf bank_mask:0xf
	v_cndmask_b32_e64 v36, 0, v36, s[12:13]
	v_add_u32_e32 v3, v3, v36
	s_and_saveexec_b64 s[30:31], s[14:15]
	s_cbranch_execz .LBB32_14
; %bb.13:                               ;   in Loop: Header=BB32_6 Depth=2
	ds_write_b32 v17, v3
.LBB32_14:                              ;   in Loop: Header=BB32_6 Depth=2
	s_or_b64 exec, exec, s[30:31]
	s_waitcnt lgkmcnt(0)
	s_barrier
	s_and_saveexec_b64 s[30:31], s[16:17]
	s_cbranch_execz .LBB32_16
; %bb.15:                               ;   in Loop: Header=BB32_6 Depth=2
	ds_read_b32 v36, v18
	s_waitcnt lgkmcnt(0)
	s_nop 0
	v_mov_b32_dpp v37, v36 row_shr:1 row_mask:0xf bank_mask:0xf
	v_cndmask_b32_e64 v37, v37, 0, s[26:27]
	v_add_u32_e32 v36, v37, v36
	s_nop 1
	v_mov_b32_dpp v37, v36 row_shr:2 row_mask:0xf bank_mask:0xf
	v_cndmask_b32_e64 v37, 0, v37, s[28:29]
	v_add_u32_e32 v36, v36, v37
	ds_write_b32 v18, v36
.LBB32_16:                              ;   in Loop: Header=BB32_6 Depth=2
	s_or_b64 exec, exec, s[30:31]
	v_mov_b32_e32 v36, 0
	s_waitcnt lgkmcnt(0)
	s_barrier
	s_and_saveexec_b64 s[30:31], s[18:19]
	s_cbranch_execz .LBB32_18
; %bb.17:                               ;   in Loop: Header=BB32_6 Depth=2
	ds_read_b32 v36, v19
.LBB32_18:                              ;   in Loop: Header=BB32_6 Depth=2
	s_or_b64 exec, exec, s[30:31]
	s_waitcnt lgkmcnt(0)
	v_add_u32_e32 v3, v36, v3
	ds_bpermute_b32 v3, v16, v3
	s_cmp_gt_u32 s33, 23
	s_waitcnt lgkmcnt(0)
	v_cndmask_b32_e64 v3, v3, v36, s[20:21]
	v_cndmask_b32_e64 v36, v3, 0, s[22:23]
	v_add_u32_e32 v37, v36, v0
	v_add_u32_e32 v0, v37, v1
	;; [unrolled: 1-line block ×3, first 2 shown]
	ds_write2_b64 v13, v[36:37], v[0:1] offset0:2 offset1:3
	s_waitcnt lgkmcnt(0)
	s_barrier
	ds_read_b32 v0, v29
	ds_read_b32 v1, v32
	;; [unrolled: 1-line block ×3, first 2 shown]
	s_waitcnt lgkmcnt(2)
	v_add_u32_e32 v29, v0, v30
	s_waitcnt lgkmcnt(1)
	v_add3_u32 v3, v33, v31, v1
	s_waitcnt lgkmcnt(0)
	v_add3_u32 v2, v6, v34, v2
	s_cbranch_scc0 .LBB32_5
; %bb.19:                               ;   in Loop: Header=BB32_2 Depth=1
                                        ; implicit-def: $vgpr6
                                        ; implicit-def: $vgpr1
                                        ; implicit-def: $sgpr33
.LBB32_20:                              ;   in Loop: Header=BB32_2 Depth=1
	v_lshlrev_b32_e32 v0, 2, v29
	s_barrier
	ds_write_b32 v0, v28
	v_lshlrev_b32_e32 v0, 2, v3
	ds_write_b32 v0, v27
	v_lshlrev_b32_e32 v0, 2, v2
	ds_write_b32 v0, v26
	s_waitcnt lgkmcnt(0)
	s_barrier
	ds_read_b32 v26, v21 offset:8
	ds_read2_b32 v[0:1], v21 offset1:1
	s_waitcnt lgkmcnt(0)
	s_barrier
	s_and_saveexec_b64 s[30:31], s[0:1]
	s_cbranch_execz .LBB32_22
; %bb.21:                               ;   in Loop: Header=BB32_2 Depth=1
	ds_write2st64_b32 v18, v25, v25 offset0:8 offset1:12
.LBB32_22:                              ;   in Loop: Header=BB32_2 Depth=1
	s_or_b64 exec, exec, s[30:31]
	v_xor_b32_e32 v6, 0x80000000, v26
	v_xor_b32_e32 v3, 0x80000000, v1
	;; [unrolled: 1-line block ×3, first 2 shown]
	v_cmp_ne_u32_e32 vcc, v1, v26
	v_mov_b32_e32 v1, v6
	s_waitcnt lgkmcnt(0)
	s_barrier
	ds_write_b32 v18, v6
	s_and_saveexec_b64 s[30:31], vcc
	s_cbranch_execz .LBB32_24
; %bb.23:                               ;   in Loop: Header=BB32_2 Depth=1
	v_lshlrev_b32_e32 v0, 2, v6
	v_lshlrev_b32_e32 v1, 2, v3
	ds_write_b32 v0, v23 offset:2048
	ds_write_b32 v1, v23 offset:3072
	v_mov_b32_e32 v1, v3
.LBB32_24:                              ;   in Loop: Header=BB32_2 Depth=1
	s_or_b64 exec, exec, s[30:31]
	v_cmp_ne_u32_e32 vcc, v2, v1
	v_lshlrev_b32_e32 v0, 2, v2
	s_and_saveexec_b64 s[30:31], vcc
	s_cbranch_execz .LBB32_26
; %bb.25:                               ;   in Loop: Header=BB32_2 Depth=1
	v_lshlrev_b32_e32 v1, 2, v1
	ds_write_b32 v1, v22 offset:2048
	ds_write_b32 v0, v22 offset:3072
.LBB32_26:                              ;   in Loop: Header=BB32_2 Depth=1
	s_or_b64 exec, exec, s[30:31]
	s_waitcnt lgkmcnt(0)
	s_barrier
	s_and_saveexec_b64 s[30:31], s[24:25]
	s_cbranch_execz .LBB32_29
; %bb.27:                               ;   in Loop: Header=BB32_2 Depth=1
	ds_read_b32 v1, v24
	s_waitcnt lgkmcnt(0)
	v_cmp_ne_u32_e32 vcc, v1, v2
	s_and_b64 exec, exec, vcc
	s_cbranch_execz .LBB32_29
; %bb.28:                               ;   in Loop: Header=BB32_2 Depth=1
	ds_write_b32 v0, v20 offset:2048
	ds_read_b32 v1, v24
	s_waitcnt lgkmcnt(0)
	v_lshlrev_b32_e32 v1, 2, v1
	ds_write_b32 v1, v20 offset:3072
.LBB32_29:                              ;   in Loop: Header=BB32_2 Depth=1
	s_or_b64 exec, exec, s[30:31]
	s_waitcnt lgkmcnt(0)
	s_barrier
	s_and_saveexec_b64 s[30:31], s[22:23]
	s_cbranch_execz .LBB32_31
; %bb.30:                               ;   in Loop: Header=BB32_2 Depth=1
	ds_write_b32 v0, v7 offset:2048
.LBB32_31:                              ;   in Loop: Header=BB32_2 Depth=1
	s_or_b64 exec, exec, s[30:31]
	s_waitcnt lgkmcnt(0)
	s_barrier
	s_and_saveexec_b64 s[30:31], s[0:1]
	s_cbranch_execz .LBB32_1
; %bb.32:                               ;   in Loop: Header=BB32_2 Depth=1
	ds_read2st64_b32 v[0:1], v18 offset0:8 offset1:12
	ds_read_b32 v26, v15
	s_waitcnt lgkmcnt(1)
	v_sub_u32_e32 v0, v1, v0
	s_waitcnt lgkmcnt(0)
	v_add_u32_e32 v0, v0, v26
	ds_write_b32 v15, v0
	s_branch .LBB32_1
.LBB32_33:
	s_and_saveexec_b64 s[2:3], s[0:1]
	s_cbranch_execz .LBB32_35
; %bb.34:
	ds_read_b32 v2, v15
	v_mov_b32_e32 v0, s38
	v_mov_b32_e32 v1, s39
	;; [unrolled: 1-line block ×3, first 2 shown]
	v_lshl_add_u64 v[0:1], v[4:5], 2, v[0:1]
	s_waitcnt lgkmcnt(0)
	global_store_dword v[0:1], v2, off
.LBB32_35:
	s_endpgm
	.section	.rodata,"a",@progbits
	.p2align	6, 0x0
	.amdhsa_kernel _Z6kernelI9histogramILN6hipcub23BlockHistogramAlgorithmE1EEiLj256ELj3ELj256ELj100EEvPKT0_PS4_
		.amdhsa_group_segment_fixed_size 5136
		.amdhsa_private_segment_fixed_size 0
		.amdhsa_kernarg_size 272
		.amdhsa_user_sgpr_count 2
		.amdhsa_user_sgpr_dispatch_ptr 0
		.amdhsa_user_sgpr_queue_ptr 0
		.amdhsa_user_sgpr_kernarg_segment_ptr 1
		.amdhsa_user_sgpr_dispatch_id 0
		.amdhsa_user_sgpr_kernarg_preload_length 0
		.amdhsa_user_sgpr_kernarg_preload_offset 0
		.amdhsa_user_sgpr_private_segment_size 0
		.amdhsa_uses_dynamic_stack 0
		.amdhsa_enable_private_segment 0
		.amdhsa_system_sgpr_workgroup_id_x 1
		.amdhsa_system_sgpr_workgroup_id_y 0
		.amdhsa_system_sgpr_workgroup_id_z 0
		.amdhsa_system_sgpr_workgroup_info 0
		.amdhsa_system_vgpr_workitem_id 2
		.amdhsa_next_free_vgpr 38
		.amdhsa_next_free_sgpr 40
		.amdhsa_accum_offset 40
		.amdhsa_reserve_vcc 1
		.amdhsa_float_round_mode_32 0
		.amdhsa_float_round_mode_16_64 0
		.amdhsa_float_denorm_mode_32 3
		.amdhsa_float_denorm_mode_16_64 3
		.amdhsa_dx10_clamp 1
		.amdhsa_ieee_mode 1
		.amdhsa_fp16_overflow 0
		.amdhsa_tg_split 0
		.amdhsa_exception_fp_ieee_invalid_op 0
		.amdhsa_exception_fp_denorm_src 0
		.amdhsa_exception_fp_ieee_div_zero 0
		.amdhsa_exception_fp_ieee_overflow 0
		.amdhsa_exception_fp_ieee_underflow 0
		.amdhsa_exception_fp_ieee_inexact 0
		.amdhsa_exception_int_div_zero 0
	.end_amdhsa_kernel
	.section	.text._Z6kernelI9histogramILN6hipcub23BlockHistogramAlgorithmE1EEiLj256ELj3ELj256ELj100EEvPKT0_PS4_,"axG",@progbits,_Z6kernelI9histogramILN6hipcub23BlockHistogramAlgorithmE1EEiLj256ELj3ELj256ELj100EEvPKT0_PS4_,comdat
.Lfunc_end32:
	.size	_Z6kernelI9histogramILN6hipcub23BlockHistogramAlgorithmE1EEiLj256ELj3ELj256ELj100EEvPKT0_PS4_, .Lfunc_end32-_Z6kernelI9histogramILN6hipcub23BlockHistogramAlgorithmE1EEiLj256ELj3ELj256ELj100EEvPKT0_PS4_
                                        ; -- End function
	.section	.AMDGPU.csdata,"",@progbits
; Kernel info:
; codeLenInByte = 2784
; NumSgprs: 46
; NumVgprs: 38
; NumAgprs: 0
; TotalNumVgprs: 38
; ScratchSize: 0
; MemoryBound: 0
; FloatMode: 240
; IeeeMode: 1
; LDSByteSize: 5136 bytes/workgroup (compile time only)
; SGPRBlocks: 5
; VGPRBlocks: 4
; NumSGPRsForWavesPerEU: 46
; NumVGPRsForWavesPerEU: 38
; AccumOffset: 40
; Occupancy: 8
; WaveLimiterHint : 0
; COMPUTE_PGM_RSRC2:SCRATCH_EN: 0
; COMPUTE_PGM_RSRC2:USER_SGPR: 2
; COMPUTE_PGM_RSRC2:TRAP_HANDLER: 0
; COMPUTE_PGM_RSRC2:TGID_X_EN: 1
; COMPUTE_PGM_RSRC2:TGID_Y_EN: 0
; COMPUTE_PGM_RSRC2:TGID_Z_EN: 0
; COMPUTE_PGM_RSRC2:TIDIG_COMP_CNT: 2
; COMPUTE_PGM_RSRC3_GFX90A:ACCUM_OFFSET: 9
; COMPUTE_PGM_RSRC3_GFX90A:TG_SPLIT: 0
	.section	.text._Z6kernelI9histogramILN6hipcub23BlockHistogramAlgorithmE1EEiLj256ELj4ELj256ELj100EEvPKT0_PS4_,"axG",@progbits,_Z6kernelI9histogramILN6hipcub23BlockHistogramAlgorithmE1EEiLj256ELj4ELj256ELj100EEvPKT0_PS4_,comdat
	.protected	_Z6kernelI9histogramILN6hipcub23BlockHistogramAlgorithmE1EEiLj256ELj4ELj256ELj100EEvPKT0_PS4_ ; -- Begin function _Z6kernelI9histogramILN6hipcub23BlockHistogramAlgorithmE1EEiLj256ELj4ELj256ELj100EEvPKT0_PS4_
	.globl	_Z6kernelI9histogramILN6hipcub23BlockHistogramAlgorithmE1EEiLj256ELj4ELj256ELj100EEvPKT0_PS4_
	.p2align	8
	.type	_Z6kernelI9histogramILN6hipcub23BlockHistogramAlgorithmE1EEiLj256ELj4ELj256ELj100EEvPKT0_PS4_,@function
_Z6kernelI9histogramILN6hipcub23BlockHistogramAlgorithmE1EEiLj256ELj4ELj256ELj100EEvPKT0_PS4_: ; @_Z6kernelI9histogramILN6hipcub23BlockHistogramAlgorithmE1EEiLj256ELj4ELj256ELj100EEvPKT0_PS4_
; %bb.0:
	s_load_dwordx4 s[40:43], s[0:1], 0x0
	s_load_dword s3, s[0:1], 0x1c
	v_and_b32_e32 v6, 0x3ff, v0
	v_lshlrev_b32_e32 v7, 2, v6
	v_lshl_or_b32 v8, s2, 10, v7
	s_waitcnt lgkmcnt(0)
	v_mov_b32_e32 v2, s40
	v_mov_b32_e32 v3, s41
	v_mov_b32_e32 v9, 0
	v_lshl_add_u64 v[2:3], v[8:9], 2, v[2:3]
	global_load_dwordx4 v[2:5], v[2:3], off
	v_mbcnt_lo_u32_b32 v1, -1, 0
	v_mbcnt_hi_u32_b32 v8, -1, v1
	v_lshrrev_b32_e32 v1, 2, v8
	v_and_b32_e32 v11, 64, v8
	v_or_b32_e32 v12, v1, v11
	v_add_u32_e32 v1, 48, v1
	v_and_or_b32 v1, v1, 63, v11
	v_lshlrev_b32_e32 v17, 2, v1
	s_lshr_b32 s10, s3, 16
	v_bfe_u32 v1, v0, 10, 10
	v_bfe_u32 v0, v0, 20, 10
	s_and_b32 s3, s3, 0xffff
	v_mad_u32_u24 v0, v0, s10, v1
	v_mad_u64_u32 v[0:1], s[10:11], v0, s3, v[6:7]
	v_lshrrev_b32_e32 v22, 6, v0
	v_and_b32_e32 v0, 15, v8
	v_cmp_eq_u32_e64 s[10:11], 0, v0
	v_cmp_lt_u32_e64 s[12:13], 1, v0
	v_cmp_lt_u32_e64 s[14:15], 3, v0
	;; [unrolled: 1-line block ×3, first 2 shown]
	v_and_b32_e32 v0, 16, v8
	v_cmp_eq_u32_e64 s[18:19], 0, v0
	v_or_b32_e32 v0, 63, v6
	v_cmp_eq_u32_e64 s[22:23], v0, v6
	v_add_u32_e32 v0, -1, v8
	v_lshlrev_b32_e32 v18, 4, v6
	v_cmp_lt_i32_e32 vcc, v0, v11
	v_mad_i32_i24 v26, v6, -12, v18
	s_mov_b32 s44, 0
	v_cndmask_b32_e32 v0, v0, v8, vcc
	v_lshlrev_b32_e32 v24, 2, v0
	v_lshrrev_b32_e32 v0, 4, v6
	s_movk_i32 s3, 0x300
	v_mad_u32_u24 v29, v6, 12, v26
	s_movk_i32 s0, 0x100
	v_and_b32_e32 v10, 3, v8
	v_lshlrev_b32_e32 v14, 2, v12
	v_and_b32_e32 v25, 12, v0
	v_and_or_b32 v0, v7, s3, v8
	v_mad_i32_i24 v30, v6, -12, v29
	s_mov_b32 s45, s44
	s_mov_b32 s40, s44
	;; [unrolled: 1-line block ×3, first 2 shown]
	v_cmp_gt_u32_e64 s[0:1], s0, v6
	v_cmp_eq_u32_e64 s[38:39], 3, v10
	v_cmp_eq_u32_e64 s[4:5], 2, v10
	;; [unrolled: 1-line block ×4, first 2 shown]
	v_add_u32_e32 v15, 64, v14
	v_or_b32_e32 v16, 0x80, v14
	v_or_b32_e32 v19, 1, v7
	;; [unrolled: 1-line block ×4, first 2 shown]
	v_cmp_lt_u32_e64 s[20:21], 31, v8
	v_cmp_gt_u32_e64 s[24:25], 4, v6
	v_cmp_lt_u32_e64 s[26:27], 63, v6
	v_cmp_eq_u32_e64 s[28:29], 0, v8
	v_cmp_eq_u32_e64 s[30:31], 0, v6
	v_cmp_ne_u32_e64 s[34:35], 0, v6
	v_cmp_lt_u32_e64 s[36:37], 1, v10
	v_add_u32_e32 v27, -4, v25
	v_lshlrev_b32_e32 v28, 2, v0
	v_add_u32_e32 v23, 0x1010, v7
	v_add_u32_e32 v31, -4, v30
	v_mov_b64_e32 v[10:11], s[44:45]
	v_mov_b64_e32 v[12:13], s[40:41]
	v_mov_b32_e32 v32, 0x400
	s_branch .LBB33_2
.LBB33_1:                               ;   in Loop: Header=BB33_2 Depth=1
	s_or_b64 exec, exec, s[40:41]
	s_add_i32 s44, s44, 1
	s_cmpk_eq_i32 s44, 0x64
	s_cbranch_scc1 .LBB33_37
.LBB33_2:                               ; =>This Loop Header: Depth=1
                                        ;     Child Loop BB33_6 Depth 2
	s_and_saveexec_b64 s[40:41], s[0:1]
	s_cbranch_execz .LBB33_4
; %bb.3:                                ;   in Loop: Header=BB33_2 Depth=1
	ds_write_b32 v23, v9
.LBB33_4:                               ;   in Loop: Header=BB33_2 Depth=1
	s_or_b64 exec, exec, s[40:41]
	s_waitcnt vmcnt(0)
	v_xor_b32_e32 v2, 0x80000000, v2
	v_xor_b32_e32 v3, 0x80000000, v3
	;; [unrolled: 1-line block ×3, first 2 shown]
	ds_bpermute_b32 v0, v14, v2
	ds_bpermute_b32 v1, v14, v3
	;; [unrolled: 1-line block ×3, first 2 shown]
	v_xor_b32_e32 v5, 0x80000000, v5
	ds_bpermute_b32 v33, v15, v3
	ds_bpermute_b32 v34, v15, v4
	s_waitcnt lgkmcnt(3)
	v_cndmask_b32_e64 v0, v0, v1, s[6:7]
	s_waitcnt lgkmcnt(2)
	v_cndmask_b32_e64 v0, v0, v8, s[4:5]
	ds_bpermute_b32 v1, v14, v5
	ds_bpermute_b32 v8, v15, v2
	;; [unrolled: 1-line block ×5, first 2 shown]
	s_waitcnt lgkmcnt(4)
	v_cndmask_b32_e64 v0, v0, v1, s[38:39]
	s_waitcnt lgkmcnt(3)
	v_cndmask_b32_e64 v1, v8, v33, s[6:7]
	v_cndmask_b32_e64 v1, v1, v34, s[4:5]
	s_waitcnt lgkmcnt(2)
	v_cndmask_b32_e64 v1, v1, v35, s[38:39]
	ds_bpermute_b32 v35, v17, v2
	ds_bpermute_b32 v3, v17, v3
	;; [unrolled: 1-line block ×6, first 2 shown]
	s_waitcnt lgkmcnt(6)
	v_cndmask_b32_e64 v8, v36, v37, s[6:7]
	s_waitcnt lgkmcnt(4)
	v_cndmask_b32_e64 v3, v35, v3, s[6:7]
	;; [unrolled: 2-line block ×6, first 2 shown]
	s_mov_b32 s3, 0
	s_barrier
	s_barrier
	s_branch .LBB33_6
.LBB33_5:                               ;   in Loop: Header=BB33_6 Depth=2
	v_lshlrev_b32_e32 v0, 2, v38
	s_barrier
	ds_write_b32 v0, v34
	v_lshlrev_b32_e32 v0, 2, v36
	ds_write_b32 v0, v33
	v_lshlrev_b32_e32 v0, 2, v35
	;; [unrolled: 2-line block ×3, first 2 shown]
	ds_write_b32 v0, v4
	s_waitcnt lgkmcnt(0)
	s_barrier
	ds_read2st64_b32 v[0:1], v28 offset1:1
	ds_read2st64_b32 v[2:3], v28 offset0:2 offset1:3
	s_add_i32 s3, s3, 8
	s_waitcnt lgkmcnt(0)
	s_barrier
	s_cbranch_execz .LBB33_22
.LBB33_6:                               ;   Parent Loop BB33_2 Depth=1
                                        ; =>  This Inner Loop Header: Depth=2
	v_mov_b32_e32 v34, v0
	v_bfe_u32 v0, v34, s3, 8
	v_lshl_add_u32 v0, v0, 2, v22
	v_bfe_u32 v8, v34, s3, 1
	v_mov_b32_e32 v33, v1
	v_lshl_add_u32 v35, v0, 2, 16
	v_lshl_add_u64 v[0:1], v[8:9], 0, -1
	v_cmp_ne_u32_e32 vcc, 0, v8
	v_mov_b32_e32 v5, v2
	v_lshrrev_b32_e32 v2, s3, v34
	v_xor_b32_e32 v1, vcc_hi, v1
	v_xor_b32_e32 v0, vcc_lo, v0
	v_mov_b32_e32 v4, v3
	v_and_b32_e32 v3, exec_hi, v1
	v_and_b32_e32 v8, exec_lo, v0
	v_lshlrev_b32_e32 v1, 30, v2
	v_mov_b32_e32 v0, v9
	v_cmp_gt_i64_e32 vcc, 0, v[0:1]
	v_not_b32_e32 v0, v1
	v_ashrrev_i32_e32 v0, 31, v0
	v_xor_b32_e32 v1, vcc_hi, v0
	v_xor_b32_e32 v0, vcc_lo, v0
	v_and_b32_e32 v3, v3, v1
	v_and_b32_e32 v8, v8, v0
	v_lshlrev_b32_e32 v1, 29, v2
	v_mov_b32_e32 v0, v9
	v_cmp_gt_i64_e32 vcc, 0, v[0:1]
	v_not_b32_e32 v0, v1
	v_ashrrev_i32_e32 v0, 31, v0
	v_xor_b32_e32 v1, vcc_hi, v0
	v_xor_b32_e32 v0, vcc_lo, v0
	v_and_b32_e32 v3, v3, v1
	v_and_b32_e32 v8, v8, v0
	;; [unrolled: 9-line block ×7, first 2 shown]
	v_mbcnt_lo_u32_b32 v2, v0, 0
	v_mbcnt_hi_u32_b32 v36, v1, v2
	v_cmp_eq_u32_e32 vcc, 0, v36
	v_cmp_ne_u64_e64 s[40:41], 0, v[0:1]
	s_and_b64 s[46:47], s[40:41], vcc
	ds_write2_b64 v18, v[10:11], v[12:13] offset0:2 offset1:3
	s_waitcnt lgkmcnt(0)
	s_barrier
	s_waitcnt lgkmcnt(0)
	; wave barrier
	s_and_saveexec_b64 s[40:41], s[46:47]
	s_cbranch_execz .LBB33_8
; %bb.7:                                ;   in Loop: Header=BB33_6 Depth=2
	v_bcnt_u32_b32 v0, v0, 0
	v_bcnt_u32_b32 v0, v1, v0
	ds_write_b32 v35, v0
.LBB33_8:                               ;   in Loop: Header=BB33_6 Depth=2
	s_or_b64 exec, exec, s[40:41]
	v_bfe_u32 v0, v33, s3, 8
	v_lshlrev_b32_e32 v0, 2, v0
	v_add_lshl_u32 v0, v0, v22, 2
	v_bfe_u32 v8, v33, s3, 1
	; wave barrier
	v_add_u32_e32 v38, 16, v0
	ds_read_b32 v37, v0 offset:16
	v_lshl_add_u64 v[0:1], v[8:9], 0, -1
	v_cmp_ne_u32_e32 vcc, 0, v8
	v_lshrrev_b32_e32 v2, s3, v33
	s_nop 0
	v_xor_b32_e32 v1, vcc_hi, v1
	v_xor_b32_e32 v0, vcc_lo, v0
	v_and_b32_e32 v3, exec_hi, v1
	v_and_b32_e32 v8, exec_lo, v0
	v_lshlrev_b32_e32 v1, 30, v2
	v_mov_b32_e32 v0, v9
	v_cmp_gt_i64_e32 vcc, 0, v[0:1]
	v_not_b32_e32 v0, v1
	v_ashrrev_i32_e32 v0, 31, v0
	v_xor_b32_e32 v1, vcc_hi, v0
	v_xor_b32_e32 v0, vcc_lo, v0
	v_and_b32_e32 v3, v3, v1
	v_and_b32_e32 v8, v8, v0
	v_lshlrev_b32_e32 v1, 29, v2
	v_mov_b32_e32 v0, v9
	v_cmp_gt_i64_e32 vcc, 0, v[0:1]
	v_not_b32_e32 v0, v1
	v_ashrrev_i32_e32 v0, 31, v0
	v_xor_b32_e32 v1, vcc_hi, v0
	v_xor_b32_e32 v0, vcc_lo, v0
	v_and_b32_e32 v3, v3, v1
	v_and_b32_e32 v8, v8, v0
	;; [unrolled: 9-line block ×7, first 2 shown]
	v_mbcnt_lo_u32_b32 v2, v0, 0
	v_mbcnt_hi_u32_b32 v39, v1, v2
	v_cmp_eq_u32_e32 vcc, 0, v39
	v_cmp_ne_u64_e64 s[40:41], 0, v[0:1]
	s_and_b64 s[46:47], s[40:41], vcc
	; wave barrier
	s_and_saveexec_b64 s[40:41], s[46:47]
	s_cbranch_execz .LBB33_10
; %bb.9:                                ;   in Loop: Header=BB33_6 Depth=2
	v_bcnt_u32_b32 v0, v0, 0
	v_bcnt_u32_b32 v0, v1, v0
	s_waitcnt lgkmcnt(0)
	v_add_u32_e32 v0, v37, v0
	ds_write_b32 v38, v0
.LBB33_10:                              ;   in Loop: Header=BB33_6 Depth=2
	s_or_b64 exec, exec, s[40:41]
	v_bfe_u32 v0, v5, s3, 8
	v_lshlrev_b32_e32 v0, 2, v0
	v_add_lshl_u32 v0, v0, v22, 2
	v_bfe_u32 v8, v5, s3, 1
	; wave barrier
	v_add_u32_e32 v41, 16, v0
	ds_read_b32 v40, v0 offset:16
	v_lshl_add_u64 v[0:1], v[8:9], 0, -1
	v_cmp_ne_u32_e32 vcc, 0, v8
	v_lshrrev_b32_e32 v2, s3, v5
	s_nop 0
	v_xor_b32_e32 v1, vcc_hi, v1
	v_xor_b32_e32 v0, vcc_lo, v0
	v_and_b32_e32 v3, exec_hi, v1
	v_and_b32_e32 v8, exec_lo, v0
	v_lshlrev_b32_e32 v1, 30, v2
	v_mov_b32_e32 v0, v9
	v_cmp_gt_i64_e32 vcc, 0, v[0:1]
	v_not_b32_e32 v0, v1
	v_ashrrev_i32_e32 v0, 31, v0
	v_xor_b32_e32 v1, vcc_hi, v0
	v_xor_b32_e32 v0, vcc_lo, v0
	v_and_b32_e32 v3, v3, v1
	v_and_b32_e32 v8, v8, v0
	v_lshlrev_b32_e32 v1, 29, v2
	v_mov_b32_e32 v0, v9
	v_cmp_gt_i64_e32 vcc, 0, v[0:1]
	v_not_b32_e32 v0, v1
	v_ashrrev_i32_e32 v0, 31, v0
	v_xor_b32_e32 v1, vcc_hi, v0
	v_xor_b32_e32 v0, vcc_lo, v0
	v_and_b32_e32 v3, v3, v1
	v_and_b32_e32 v8, v8, v0
	;; [unrolled: 9-line block ×7, first 2 shown]
	v_mbcnt_lo_u32_b32 v2, v0, 0
	v_mbcnt_hi_u32_b32 v42, v1, v2
	v_cmp_eq_u32_e32 vcc, 0, v42
	v_cmp_ne_u64_e64 s[40:41], 0, v[0:1]
	s_and_b64 s[46:47], s[40:41], vcc
	; wave barrier
	s_and_saveexec_b64 s[40:41], s[46:47]
	s_cbranch_execz .LBB33_12
; %bb.11:                               ;   in Loop: Header=BB33_6 Depth=2
	v_bcnt_u32_b32 v0, v0, 0
	v_bcnt_u32_b32 v0, v1, v0
	s_waitcnt lgkmcnt(0)
	v_add_u32_e32 v0, v40, v0
	ds_write_b32 v41, v0
.LBB33_12:                              ;   in Loop: Header=BB33_6 Depth=2
	s_or_b64 exec, exec, s[40:41]
	v_bfe_u32 v0, v4, s3, 8
	v_lshlrev_b32_e32 v0, 2, v0
	v_add_lshl_u32 v0, v0, v22, 2
	v_bfe_u32 v8, v4, s3, 1
	; wave barrier
	v_add_u32_e32 v44, 16, v0
	ds_read_b32 v43, v0 offset:16
	v_lshl_add_u64 v[0:1], v[8:9], 0, -1
	v_cmp_ne_u32_e32 vcc, 0, v8
	v_lshrrev_b32_e32 v2, s3, v4
	s_nop 0
	v_xor_b32_e32 v1, vcc_hi, v1
	v_xor_b32_e32 v0, vcc_lo, v0
	v_and_b32_e32 v3, exec_hi, v1
	v_and_b32_e32 v8, exec_lo, v0
	v_lshlrev_b32_e32 v1, 30, v2
	v_mov_b32_e32 v0, v9
	v_cmp_gt_i64_e32 vcc, 0, v[0:1]
	v_not_b32_e32 v0, v1
	v_ashrrev_i32_e32 v0, 31, v0
	v_xor_b32_e32 v1, vcc_hi, v0
	v_xor_b32_e32 v0, vcc_lo, v0
	v_and_b32_e32 v3, v3, v1
	v_and_b32_e32 v8, v8, v0
	v_lshlrev_b32_e32 v1, 29, v2
	v_mov_b32_e32 v0, v9
	v_cmp_gt_i64_e32 vcc, 0, v[0:1]
	v_not_b32_e32 v0, v1
	v_ashrrev_i32_e32 v0, 31, v0
	v_xor_b32_e32 v1, vcc_hi, v0
	v_xor_b32_e32 v0, vcc_lo, v0
	v_and_b32_e32 v3, v3, v1
	v_and_b32_e32 v8, v8, v0
	v_lshlrev_b32_e32 v1, 28, v2
	v_mov_b32_e32 v0, v9
	v_cmp_gt_i64_e32 vcc, 0, v[0:1]
	v_not_b32_e32 v0, v1
	v_ashrrev_i32_e32 v0, 31, v0
	v_xor_b32_e32 v1, vcc_hi, v0
	v_xor_b32_e32 v0, vcc_lo, v0
	v_and_b32_e32 v3, v3, v1
	v_and_b32_e32 v8, v8, v0
	v_lshlrev_b32_e32 v1, 27, v2
	v_mov_b32_e32 v0, v9
	v_cmp_gt_i64_e32 vcc, 0, v[0:1]
	v_not_b32_e32 v0, v1
	v_ashrrev_i32_e32 v0, 31, v0
	v_xor_b32_e32 v1, vcc_hi, v0
	v_xor_b32_e32 v0, vcc_lo, v0
	v_and_b32_e32 v3, v3, v1
	v_and_b32_e32 v8, v8, v0
	v_lshlrev_b32_e32 v1, 26, v2
	v_mov_b32_e32 v0, v9
	v_cmp_gt_i64_e32 vcc, 0, v[0:1]
	v_not_b32_e32 v0, v1
	v_ashrrev_i32_e32 v0, 31, v0
	v_xor_b32_e32 v1, vcc_hi, v0
	v_xor_b32_e32 v0, vcc_lo, v0
	v_and_b32_e32 v3, v3, v1
	v_and_b32_e32 v8, v8, v0
	v_lshlrev_b32_e32 v1, 25, v2
	v_mov_b32_e32 v0, v9
	v_cmp_gt_i64_e32 vcc, 0, v[0:1]
	v_not_b32_e32 v0, v1
	v_ashrrev_i32_e32 v0, 31, v0
	v_xor_b32_e32 v1, vcc_hi, v0
	v_xor_b32_e32 v0, vcc_lo, v0
	v_and_b32_e32 v3, v3, v1
	v_and_b32_e32 v8, v8, v0
	v_lshlrev_b32_e32 v1, 24, v2
	v_mov_b32_e32 v0, v9
	v_cmp_gt_i64_e32 vcc, 0, v[0:1]
	v_not_b32_e32 v0, v1
	v_ashrrev_i32_e32 v0, 31, v0
	v_xor_b32_e32 v1, vcc_hi, v0
	v_xor_b32_e32 v0, vcc_lo, v0
	v_and_b32_e32 v0, v8, v0
	v_and_b32_e32 v1, v3, v1
	v_mbcnt_lo_u32_b32 v2, v0, 0
	v_mbcnt_hi_u32_b32 v8, v1, v2
	v_cmp_eq_u32_e32 vcc, 0, v8
	v_cmp_ne_u64_e64 s[40:41], 0, v[0:1]
	s_and_b64 s[46:47], s[40:41], vcc
	; wave barrier
	s_and_saveexec_b64 s[40:41], s[46:47]
	s_cbranch_execz .LBB33_14
; %bb.13:                               ;   in Loop: Header=BB33_6 Depth=2
	v_bcnt_u32_b32 v0, v0, 0
	v_bcnt_u32_b32 v0, v1, v0
	s_waitcnt lgkmcnt(0)
	v_add_u32_e32 v0, v43, v0
	ds_write_b32 v44, v0
.LBB33_14:                              ;   in Loop: Header=BB33_6 Depth=2
	s_or_b64 exec, exec, s[40:41]
	; wave barrier
	s_waitcnt lgkmcnt(0)
	s_barrier
	ds_read2_b64 v[0:3], v18 offset0:2 offset1:3
	s_waitcnt lgkmcnt(0)
	v_add_u32_e32 v45, v1, v0
	v_add3_u32 v3, v45, v2, v3
	s_nop 1
	v_mov_b32_dpp v45, v3 row_shr:1 row_mask:0xf bank_mask:0xf
	v_cndmask_b32_e64 v45, v45, 0, s[10:11]
	v_add_u32_e32 v3, v45, v3
	s_nop 1
	v_mov_b32_dpp v45, v3 row_shr:2 row_mask:0xf bank_mask:0xf
	v_cndmask_b32_e64 v45, 0, v45, s[12:13]
	v_add_u32_e32 v3, v3, v45
	;; [unrolled: 4-line block ×4, first 2 shown]
	s_nop 1
	v_mov_b32_dpp v45, v3 row_bcast:15 row_mask:0xf bank_mask:0xf
	v_cndmask_b32_e64 v45, v45, 0, s[18:19]
	v_add_u32_e32 v3, v3, v45
	s_nop 1
	v_mov_b32_dpp v45, v3 row_bcast:31 row_mask:0xf bank_mask:0xf
	v_cndmask_b32_e64 v45, 0, v45, s[20:21]
	v_add_u32_e32 v3, v3, v45
	s_and_saveexec_b64 s[40:41], s[22:23]
	s_cbranch_execz .LBB33_16
; %bb.15:                               ;   in Loop: Header=BB33_6 Depth=2
	ds_write_b32 v25, v3
.LBB33_16:                              ;   in Loop: Header=BB33_6 Depth=2
	s_or_b64 exec, exec, s[40:41]
	s_waitcnt lgkmcnt(0)
	s_barrier
	s_and_saveexec_b64 s[40:41], s[24:25]
	s_cbranch_execz .LBB33_18
; %bb.17:                               ;   in Loop: Header=BB33_6 Depth=2
	ds_read_b32 v45, v26
	s_waitcnt lgkmcnt(0)
	s_nop 0
	v_mov_b32_dpp v46, v45 row_shr:1 row_mask:0xf bank_mask:0xf
	v_cndmask_b32_e64 v46, v46, 0, s[8:9]
	v_add_u32_e32 v45, v46, v45
	s_nop 1
	v_mov_b32_dpp v46, v45 row_shr:2 row_mask:0xf bank_mask:0xf
	v_cndmask_b32_e64 v46, 0, v46, s[36:37]
	v_add_u32_e32 v45, v45, v46
	ds_write_b32 v26, v45
.LBB33_18:                              ;   in Loop: Header=BB33_6 Depth=2
	s_or_b64 exec, exec, s[40:41]
	v_mov_b32_e32 v45, 0
	s_waitcnt lgkmcnt(0)
	s_barrier
	s_and_saveexec_b64 s[40:41], s[26:27]
	s_cbranch_execz .LBB33_20
; %bb.19:                               ;   in Loop: Header=BB33_6 Depth=2
	ds_read_b32 v45, v27
.LBB33_20:                              ;   in Loop: Header=BB33_6 Depth=2
	s_or_b64 exec, exec, s[40:41]
	s_waitcnt lgkmcnt(0)
	v_add_u32_e32 v3, v45, v3
	ds_bpermute_b32 v3, v24, v3
	s_cmp_gt_u32 s3, 23
	s_waitcnt lgkmcnt(0)
	v_cndmask_b32_e64 v3, v3, v45, s[28:29]
	v_cndmask_b32_e64 v46, v3, 0, s[30:31]
	v_add_u32_e32 v47, v46, v0
	v_add_u32_e32 v0, v47, v1
	;; [unrolled: 1-line block ×3, first 2 shown]
	ds_write2_b64 v18, v[46:47], v[0:1] offset0:2 offset1:3
	s_waitcnt lgkmcnt(0)
	s_barrier
	ds_read_b32 v0, v35
	ds_read_b32 v1, v38
	ds_read_b32 v2, v41
	ds_read_b32 v3, v44
	s_waitcnt lgkmcnt(3)
	v_add_u32_e32 v38, v0, v36
	s_waitcnt lgkmcnt(2)
	v_add3_u32 v36, v39, v37, v1
	s_waitcnt lgkmcnt(1)
	v_add3_u32 v35, v42, v40, v2
	;; [unrolled: 2-line block ×3, first 2 shown]
	s_cbranch_scc0 .LBB33_5
; %bb.21:                               ;   in Loop: Header=BB33_2 Depth=1
                                        ; implicit-def: $vgpr3
                                        ; implicit-def: $vgpr1
                                        ; implicit-def: $sgpr3
.LBB33_22:                              ;   in Loop: Header=BB33_2 Depth=1
	v_lshlrev_b32_e32 v0, 2, v38
	s_barrier
	ds_write_b32 v0, v34
	v_lshlrev_b32_e32 v0, 2, v36
	ds_write_b32 v0, v33
	v_lshlrev_b32_e32 v0, 2, v35
	;; [unrolled: 2-line block ×3, first 2 shown]
	ds_write_b32 v0, v4
	s_waitcnt lgkmcnt(0)
	s_barrier
	ds_read2_b64 v[0:3], v29 offset1:1
	s_waitcnt lgkmcnt(0)
	s_barrier
	s_and_saveexec_b64 s[40:41], s[0:1]
	s_cbranch_execz .LBB33_24
; %bb.23:                               ;   in Loop: Header=BB33_2 Depth=1
	ds_write2st64_b32 v30, v32, v32 offset0:8 offset1:12
.LBB33_24:                              ;   in Loop: Header=BB33_2 Depth=1
	s_or_b64 exec, exec, s[40:41]
	v_xor_b32_e32 v5, 0x80000000, v3
	v_xor_b32_e32 v4, 0x80000000, v2
	v_cmp_ne_u32_e32 vcc, v2, v3
	v_mov_b32_e32 v2, v5
	s_waitcnt lgkmcnt(0)
	s_barrier
	ds_write_b32 v26, v5
	s_and_saveexec_b64 s[40:41], vcc
	s_cbranch_execz .LBB33_26
; %bb.25:                               ;   in Loop: Header=BB33_2 Depth=1
	v_lshlrev_b32_e32 v2, 2, v5
	v_lshlrev_b32_e32 v3, 2, v4
	ds_write_b32 v2, v21 offset:2048
	ds_write_b32 v3, v21 offset:3072
	v_mov_b32_e32 v2, v4
.LBB33_26:                              ;   in Loop: Header=BB33_2 Depth=1
	s_or_b64 exec, exec, s[40:41]
	v_xor_b32_e32 v3, 0x80000000, v1
	v_cmp_ne_u32_e32 vcc, v3, v2
	v_lshlrev_b32_e32 v8, 2, v3
	s_and_saveexec_b64 s[40:41], vcc
	s_cbranch_execz .LBB33_28
; %bb.27:                               ;   in Loop: Header=BB33_2 Depth=1
	v_lshlrev_b32_e32 v2, 2, v2
	ds_write_b32 v2, v20 offset:2048
	ds_write_b32 v8, v20 offset:3072
.LBB33_28:                              ;   in Loop: Header=BB33_2 Depth=1
	s_or_b64 exec, exec, s[40:41]
	v_xor_b32_e32 v2, 0x80000000, v0
	v_cmp_ne_u32_e32 vcc, v0, v1
	v_lshlrev_b32_e32 v0, 2, v2
	s_and_saveexec_b64 s[40:41], vcc
	s_cbranch_execz .LBB33_30
; %bb.29:                               ;   in Loop: Header=BB33_2 Depth=1
	ds_write_b32 v8, v19 offset:2048
	ds_write_b32 v0, v19 offset:3072
.LBB33_30:                              ;   in Loop: Header=BB33_2 Depth=1
	s_or_b64 exec, exec, s[40:41]
	s_waitcnt lgkmcnt(0)
	s_barrier
	s_and_saveexec_b64 s[40:41], s[34:35]
	s_cbranch_execz .LBB33_33
; %bb.31:                               ;   in Loop: Header=BB33_2 Depth=1
	ds_read_b32 v1, v31
	s_waitcnt lgkmcnt(0)
	v_cmp_ne_u32_e32 vcc, v1, v2
	s_and_b64 exec, exec, vcc
	s_cbranch_execz .LBB33_33
; %bb.32:                               ;   in Loop: Header=BB33_2 Depth=1
	ds_write_b32 v0, v7 offset:2048
	ds_read_b32 v1, v31
	s_waitcnt lgkmcnt(0)
	v_lshlrev_b32_e32 v1, 2, v1
	ds_write_b32 v1, v7 offset:3072
.LBB33_33:                              ;   in Loop: Header=BB33_2 Depth=1
	s_or_b64 exec, exec, s[40:41]
	s_waitcnt lgkmcnt(0)
	s_barrier
	s_and_saveexec_b64 s[40:41], s[30:31]
	s_cbranch_execz .LBB33_35
; %bb.34:                               ;   in Loop: Header=BB33_2 Depth=1
	ds_write_b32 v0, v9 offset:2048
.LBB33_35:                              ;   in Loop: Header=BB33_2 Depth=1
	s_or_b64 exec, exec, s[40:41]
	s_waitcnt lgkmcnt(0)
	s_barrier
	s_and_saveexec_b64 s[40:41], s[0:1]
	s_cbranch_execz .LBB33_1
; %bb.36:                               ;   in Loop: Header=BB33_2 Depth=1
	ds_read2st64_b32 v[0:1], v30 offset0:8 offset1:12
	ds_read_b32 v8, v23
	s_waitcnt lgkmcnt(1)
	v_sub_u32_e32 v0, v1, v0
	s_waitcnt lgkmcnt(0)
	v_add_u32_e32 v0, v0, v8
	ds_write_b32 v23, v0
	s_branch .LBB33_1
.LBB33_37:
	s_and_saveexec_b64 s[4:5], s[0:1]
	s_cbranch_execz .LBB33_39
; %bb.38:
	ds_read_b32 v4, v23
	v_mov_b32_e32 v0, s42
	v_mov_b32_e32 v1, s43
	v_lshl_or_b32 v2, s2, 8, v6
	v_mov_b32_e32 v3, 0
	v_lshl_add_u64 v[0:1], v[2:3], 2, v[0:1]
	s_waitcnt lgkmcnt(0)
	global_store_dword v[0:1], v4, off
.LBB33_39:
	s_endpgm
	.section	.rodata,"a",@progbits
	.p2align	6, 0x0
	.amdhsa_kernel _Z6kernelI9histogramILN6hipcub23BlockHistogramAlgorithmE1EEiLj256ELj4ELj256ELj100EEvPKT0_PS4_
		.amdhsa_group_segment_fixed_size 5136
		.amdhsa_private_segment_fixed_size 0
		.amdhsa_kernarg_size 272
		.amdhsa_user_sgpr_count 2
		.amdhsa_user_sgpr_dispatch_ptr 0
		.amdhsa_user_sgpr_queue_ptr 0
		.amdhsa_user_sgpr_kernarg_segment_ptr 1
		.amdhsa_user_sgpr_dispatch_id 0
		.amdhsa_user_sgpr_kernarg_preload_length 0
		.amdhsa_user_sgpr_kernarg_preload_offset 0
		.amdhsa_user_sgpr_private_segment_size 0
		.amdhsa_uses_dynamic_stack 0
		.amdhsa_enable_private_segment 0
		.amdhsa_system_sgpr_workgroup_id_x 1
		.amdhsa_system_sgpr_workgroup_id_y 0
		.amdhsa_system_sgpr_workgroup_id_z 0
		.amdhsa_system_sgpr_workgroup_info 0
		.amdhsa_system_vgpr_workitem_id 2
		.amdhsa_next_free_vgpr 48
		.amdhsa_next_free_sgpr 48
		.amdhsa_accum_offset 48
		.amdhsa_reserve_vcc 1
		.amdhsa_float_round_mode_32 0
		.amdhsa_float_round_mode_16_64 0
		.amdhsa_float_denorm_mode_32 3
		.amdhsa_float_denorm_mode_16_64 3
		.amdhsa_dx10_clamp 1
		.amdhsa_ieee_mode 1
		.amdhsa_fp16_overflow 0
		.amdhsa_tg_split 0
		.amdhsa_exception_fp_ieee_invalid_op 0
		.amdhsa_exception_fp_denorm_src 0
		.amdhsa_exception_fp_ieee_div_zero 0
		.amdhsa_exception_fp_ieee_overflow 0
		.amdhsa_exception_fp_ieee_underflow 0
		.amdhsa_exception_fp_ieee_inexact 0
		.amdhsa_exception_int_div_zero 0
	.end_amdhsa_kernel
	.section	.text._Z6kernelI9histogramILN6hipcub23BlockHistogramAlgorithmE1EEiLj256ELj4ELj256ELj100EEvPKT0_PS4_,"axG",@progbits,_Z6kernelI9histogramILN6hipcub23BlockHistogramAlgorithmE1EEiLj256ELj4ELj256ELj100EEvPKT0_PS4_,comdat
.Lfunc_end33:
	.size	_Z6kernelI9histogramILN6hipcub23BlockHistogramAlgorithmE1EEiLj256ELj4ELj256ELj100EEvPKT0_PS4_, .Lfunc_end33-_Z6kernelI9histogramILN6hipcub23BlockHistogramAlgorithmE1EEiLj256ELj4ELj256ELj100EEvPKT0_PS4_
                                        ; -- End function
	.section	.AMDGPU.csdata,"",@progbits
; Kernel info:
; codeLenInByte = 3508
; NumSgprs: 54
; NumVgprs: 48
; NumAgprs: 0
; TotalNumVgprs: 48
; ScratchSize: 0
; MemoryBound: 0
; FloatMode: 240
; IeeeMode: 1
; LDSByteSize: 5136 bytes/workgroup (compile time only)
; SGPRBlocks: 6
; VGPRBlocks: 5
; NumSGPRsForWavesPerEU: 54
; NumVGPRsForWavesPerEU: 48
; AccumOffset: 48
; Occupancy: 8
; WaveLimiterHint : 0
; COMPUTE_PGM_RSRC2:SCRATCH_EN: 0
; COMPUTE_PGM_RSRC2:USER_SGPR: 2
; COMPUTE_PGM_RSRC2:TRAP_HANDLER: 0
; COMPUTE_PGM_RSRC2:TGID_X_EN: 1
; COMPUTE_PGM_RSRC2:TGID_Y_EN: 0
; COMPUTE_PGM_RSRC2:TGID_Z_EN: 0
; COMPUTE_PGM_RSRC2:TIDIG_COMP_CNT: 2
; COMPUTE_PGM_RSRC3_GFX90A:ACCUM_OFFSET: 11
; COMPUTE_PGM_RSRC3_GFX90A:TG_SPLIT: 0
	.section	.text._Z6kernelI9histogramILN6hipcub23BlockHistogramAlgorithmE1EEiLj256ELj8ELj256ELj100EEvPKT0_PS4_,"axG",@progbits,_Z6kernelI9histogramILN6hipcub23BlockHistogramAlgorithmE1EEiLj256ELj8ELj256ELj100EEvPKT0_PS4_,comdat
	.protected	_Z6kernelI9histogramILN6hipcub23BlockHistogramAlgorithmE1EEiLj256ELj8ELj256ELj100EEvPKT0_PS4_ ; -- Begin function _Z6kernelI9histogramILN6hipcub23BlockHistogramAlgorithmE1EEiLj256ELj8ELj256ELj100EEvPKT0_PS4_
	.globl	_Z6kernelI9histogramILN6hipcub23BlockHistogramAlgorithmE1EEiLj256ELj8ELj256ELj100EEvPKT0_PS4_
	.p2align	8
	.type	_Z6kernelI9histogramILN6hipcub23BlockHistogramAlgorithmE1EEiLj256ELj8ELj256ELj100EEvPKT0_PS4_,@function
_Z6kernelI9histogramILN6hipcub23BlockHistogramAlgorithmE1EEiLj256ELj8ELj256ELj100EEvPKT0_PS4_: ; @_Z6kernelI9histogramILN6hipcub23BlockHistogramAlgorithmE1EEiLj256ELj8ELj256ELj100EEvPKT0_PS4_
; %bb.0:
	s_load_dwordx4 s[36:39], s[0:1], 0x0
	s_load_dword s3, s[0:1], 0x1c
	v_and_b32_e32 v14, 0x3ff, v0
	v_lshlrev_b32_e32 v15, 3, v14
	v_lshl_or_b32 v16, s2, 11, v15
	s_waitcnt lgkmcnt(0)
	v_mov_b32_e32 v2, s36
	v_mov_b32_e32 v3, s37
	;; [unrolled: 1-line block ×3, first 2 shown]
	v_lshl_add_u64 v[10:11], v[16:17], 2, v[2:3]
	global_load_dwordx4 v[6:9], v[10:11], off
	global_load_dwordx4 v[2:5], v[10:11], off offset:16
	v_mbcnt_lo_u32_b32 v1, -1, 0
	v_mbcnt_hi_u32_b32 v10, -1, v1
	s_movk_i32 s4, 0x600
	v_and_or_b32 v1, v15, s4, v10
	v_lshlrev_b32_e32 v19, 2, v1
	s_lshr_b32 s4, s3, 16
	v_bfe_u32 v1, v0, 10, 10
	v_bfe_u32 v0, v0, 20, 10
	s_and_b32 s3, s3, 0xffff
	v_mad_u32_u24 v0, v0, s4, v1
	v_mad_u64_u32 v[0:1], s[4:5], v0, s3, v[14:15]
	v_lshrrev_b32_e32 v21, 6, v0
	v_and_b32_e32 v0, 15, v10
	v_and_b32_e32 v11, 0xc0, v14
	v_cmp_eq_u32_e64 s[30:31], 0, v0
	v_cmp_lt_u32_e64 s[4:5], 1, v0
	v_cmp_lt_u32_e64 s[6:7], 3, v0
	;; [unrolled: 1-line block ×3, first 2 shown]
	v_and_b32_e32 v0, 16, v10
	v_cmp_eq_u32_e64 s[10:11], 0, v0
	v_or_b32_e32 v0, 63, v11
	v_cmp_eq_u32_e64 s[14:15], v0, v14
	v_add_u32_e32 v0, -1, v10
	v_and_b32_e32 v1, 64, v10
	v_cmp_lt_i32_e32 vcc, v0, v1
	v_lshlrev_b32_e32 v20, 4, v14
	v_mad_i32_i24 v25, v14, -12, v20
	v_cndmask_b32_e32 v0, v0, v10, vcc
	v_lshlrev_b32_e32 v22, 2, v0
	v_lshrrev_b32_e32 v0, 4, v14
	v_and_b32_e32 v24, 12, v0
	v_and_b32_e32 v0, 3, v10
	v_mad_u32_u24 v27, v14, 28, v25
	s_movk_i32 s3, 0xffe4
	s_movk_i32 s0, 0x100
	s_mov_b32 s36, 0
	v_cmp_eq_u32_e64 s[26:27], 0, v0
	v_cmp_lt_u32_e64 s[28:29], 1, v0
	v_mov_b32_e32 v0, 0x2000
	v_mad_i32_i24 v35, v14, s3, v27
	v_cmp_gt_u32_e64 s[0:1], s0, v14
	v_add_lshl_u32 v18, v10, v11, 5
	v_cmp_lt_u32_e64 s[12:13], 31, v10
	v_cmp_gt_u32_e64 s[16:17], 4, v14
	v_cmp_lt_u32_e64 s[18:19], 63, v14
	v_cmp_eq_u32_e64 s[20:21], 0, v10
	v_cmp_eq_u32_e64 s[22:23], 0, v14
	v_cmp_ne_u32_e64 s[24:25], 0, v14
	v_add_u32_e32 v26, -4, v24
	v_or_b32_e32 v28, 1, v15
	v_or_b32_e32 v29, 2, v15
	v_or_b32_e32 v30, 3, v15
	v_or_b32_e32 v31, 4, v15
	v_or_b32_e32 v32, 5, v15
	v_or_b32_e32 v33, 6, v15
	v_or_b32_e32 v34, 7, v15
	v_lshl_or_b32 v23, v14, 2, v0
	v_add_u32_e32 v36, -4, v35
	s_mov_b32 s37, s36
	s_mov_b32 s40, s36
	;; [unrolled: 1-line block ×3, first 2 shown]
	v_mov_b32_e32 v37, 0x800
	s_mov_b32 s3, s36
	s_branch .LBB34_2
.LBB34_1:                               ;   in Loop: Header=BB34_2 Depth=1
	s_or_b64 exec, exec, s[34:35]
	s_add_i32 s3, s3, 1
	s_cmpk_eq_i32 s3, 0x64
	s_cbranch_scc1 .LBB34_53
.LBB34_2:                               ; =>This Loop Header: Depth=1
                                        ;     Child Loop BB34_6 Depth 2
	s_and_saveexec_b64 s[34:35], s[0:1]
	s_cbranch_execz .LBB34_4
; %bb.3:                                ;   in Loop: Header=BB34_2 Depth=1
	ds_write_b32 v23, v17
.LBB34_4:                               ;   in Loop: Header=BB34_2 Depth=1
	s_or_b64 exec, exec, s[34:35]
	s_waitcnt vmcnt(1)
	v_xor_b32_e32 v1, 0x80000000, v7
	v_xor_b32_e32 v0, 0x80000000, v6
	;; [unrolled: 1-line block ×4, first 2 shown]
	s_waitcnt lgkmcnt(0)
	s_barrier
	ds_write2_b64 v18, v[0:1], v[6:7] offset1:1
	s_waitcnt vmcnt(0)
	v_xor_b32_e32 v1, 0x80000000, v3
	v_xor_b32_e32 v0, 0x80000000, v2
	;; [unrolled: 1-line block ×4, first 2 shown]
	ds_write2_b64 v18, v[0:1], v[2:3] offset0:2 offset1:3
	; wave barrier
	ds_read2st64_b32 v[0:1], v19 offset1:1
	ds_read2st64_b32 v[2:3], v19 offset0:2 offset1:3
	ds_read2st64_b32 v[4:5], v19 offset0:4 offset1:5
	;; [unrolled: 1-line block ×3, first 2 shown]
	s_mov_b32 s33, 0
	s_waitcnt lgkmcnt(0)
	s_barrier
	s_waitcnt lgkmcnt(0)
	; wave barrier
	s_barrier
	s_branch .LBB34_6
.LBB34_5:                               ;   in Loop: Header=BB34_6 Depth=2
	v_lshlrev_b32_e32 v0, 2, v51
	s_barrier
	ds_write_b32 v0, v39
	v_lshlrev_b32_e32 v0, 2, v48
	ds_write_b32 v0, v38
	v_lshlrev_b32_e32 v0, 2, v45
	ds_write_b32 v0, v13
	v_lshlrev_b32_e32 v0, 2, v43
	ds_write_b32 v0, v12
	v_lshlrev_b32_e32 v0, 2, v42
	ds_write_b32 v0, v11
	v_lshlrev_b32_e32 v0, 2, v41
	ds_write_b32 v0, v10
	v_lshlrev_b32_e32 v0, 2, v40
	ds_write_b32 v0, v9
	v_lshlrev_b32_e32 v0, 2, v16
	ds_write_b32 v0, v8
	s_waitcnt lgkmcnt(0)
	s_barrier
	ds_read2st64_b32 v[0:1], v19 offset1:1
	ds_read2st64_b32 v[2:3], v19 offset0:2 offset1:3
	ds_read2st64_b32 v[4:5], v19 offset0:4 offset1:5
	;; [unrolled: 1-line block ×3, first 2 shown]
	s_add_i32 s33, s33, 8
	s_waitcnt lgkmcnt(0)
	s_barrier
	s_cbranch_execz .LBB34_30
.LBB34_6:                               ;   Parent Loop BB34_2 Depth=1
                                        ; =>  This Inner Loop Header: Depth=2
	v_mov_b32_e32 v12, v3
	v_mov_b32_e32 v13, v2
	v_mov_b32_e32 v38, v1
	v_mov_b32_e32 v39, v0
	v_mov_b64_e32 v[0:1], s[36:37]
	v_mov_b64_e32 v[2:3], s[40:41]
	ds_write2_b64 v20, v[0:1], v[2:3] offset0:2 offset1:3
	v_bfe_u32 v0, v39, s33, 8
	v_lshl_add_u32 v0, v0, 2, v21
	v_bfe_u32 v16, v39, s33, 1
	v_mov_b32_e32 v11, v4
	v_lshl_add_u32 v4, v0, 2, 16
	v_lshl_add_u64 v[0:1], v[16:17], 0, -1
	v_cmp_ne_u32_e32 vcc, 0, v16
	v_lshrrev_b32_e32 v2, s33, v39
	v_mov_b32_e32 v10, v5
	v_xor_b32_e32 v1, vcc_hi, v1
	v_xor_b32_e32 v0, vcc_lo, v0
	v_and_b32_e32 v3, exec_hi, v1
	v_and_b32_e32 v5, exec_lo, v0
	v_lshlrev_b32_e32 v1, 30, v2
	v_mov_b32_e32 v0, v17
	v_cmp_gt_i64_e32 vcc, 0, v[0:1]
	v_not_b32_e32 v0, v1
	v_ashrrev_i32_e32 v0, 31, v0
	v_xor_b32_e32 v1, vcc_hi, v0
	v_xor_b32_e32 v0, vcc_lo, v0
	v_and_b32_e32 v3, v3, v1
	v_and_b32_e32 v5, v5, v0
	v_lshlrev_b32_e32 v1, 29, v2
	v_mov_b32_e32 v0, v17
	v_cmp_gt_i64_e32 vcc, 0, v[0:1]
	v_not_b32_e32 v0, v1
	v_ashrrev_i32_e32 v0, 31, v0
	v_xor_b32_e32 v1, vcc_hi, v0
	v_xor_b32_e32 v0, vcc_lo, v0
	v_and_b32_e32 v3, v3, v1
	v_and_b32_e32 v5, v5, v0
	;; [unrolled: 9-line block ×7, first 2 shown]
	v_mbcnt_lo_u32_b32 v2, v0, 0
	v_mbcnt_hi_u32_b32 v5, v1, v2
	v_cmp_eq_u32_e32 vcc, 0, v5
	v_cmp_ne_u64_e64 s[34:35], 0, v[0:1]
	v_mov_b32_e32 v8, v7
	v_mov_b32_e32 v9, v6
	s_and_b64 s[42:43], s[34:35], vcc
	s_waitcnt lgkmcnt(0)
	s_barrier
	s_waitcnt lgkmcnt(0)
	; wave barrier
	s_and_saveexec_b64 s[34:35], s[42:43]
	s_cbranch_execz .LBB34_8
; %bb.7:                                ;   in Loop: Header=BB34_6 Depth=2
	v_bcnt_u32_b32 v0, v0, 0
	v_bcnt_u32_b32 v0, v1, v0
	ds_write_b32 v4, v0
.LBB34_8:                               ;   in Loop: Header=BB34_6 Depth=2
	s_or_b64 exec, exec, s[34:35]
	v_bfe_u32 v0, v38, s33, 8
	v_lshlrev_b32_e32 v0, 2, v0
	v_add_lshl_u32 v0, v0, v21, 2
	v_bfe_u32 v16, v38, s33, 1
	; wave barrier
	v_add_u32_e32 v7, 16, v0
	ds_read_b32 v6, v0 offset:16
	v_lshl_add_u64 v[0:1], v[16:17], 0, -1
	v_cmp_ne_u32_e32 vcc, 0, v16
	v_lshrrev_b32_e32 v2, s33, v38
	s_nop 0
	v_xor_b32_e32 v1, vcc_hi, v1
	v_xor_b32_e32 v0, vcc_lo, v0
	v_and_b32_e32 v3, exec_hi, v1
	v_and_b32_e32 v16, exec_lo, v0
	v_lshlrev_b32_e32 v1, 30, v2
	v_mov_b32_e32 v0, v17
	v_cmp_gt_i64_e32 vcc, 0, v[0:1]
	v_not_b32_e32 v0, v1
	v_ashrrev_i32_e32 v0, 31, v0
	v_xor_b32_e32 v1, vcc_hi, v0
	v_xor_b32_e32 v0, vcc_lo, v0
	v_and_b32_e32 v3, v3, v1
	v_and_b32_e32 v16, v16, v0
	v_lshlrev_b32_e32 v1, 29, v2
	v_mov_b32_e32 v0, v17
	v_cmp_gt_i64_e32 vcc, 0, v[0:1]
	v_not_b32_e32 v0, v1
	v_ashrrev_i32_e32 v0, 31, v0
	v_xor_b32_e32 v1, vcc_hi, v0
	v_xor_b32_e32 v0, vcc_lo, v0
	v_and_b32_e32 v3, v3, v1
	v_and_b32_e32 v16, v16, v0
	;; [unrolled: 9-line block ×7, first 2 shown]
	v_mbcnt_lo_u32_b32 v2, v0, 0
	v_mbcnt_hi_u32_b32 v40, v1, v2
	v_cmp_eq_u32_e32 vcc, 0, v40
	v_cmp_ne_u64_e64 s[34:35], 0, v[0:1]
	s_and_b64 s[42:43], s[34:35], vcc
	; wave barrier
	s_and_saveexec_b64 s[34:35], s[42:43]
	s_cbranch_execz .LBB34_10
; %bb.9:                                ;   in Loop: Header=BB34_6 Depth=2
	v_bcnt_u32_b32 v0, v0, 0
	v_bcnt_u32_b32 v0, v1, v0
	s_waitcnt lgkmcnt(0)
	v_add_u32_e32 v0, v6, v0
	ds_write_b32 v7, v0
.LBB34_10:                              ;   in Loop: Header=BB34_6 Depth=2
	s_or_b64 exec, exec, s[34:35]
	v_bfe_u32 v0, v13, s33, 8
	v_lshlrev_b32_e32 v0, 2, v0
	v_add_lshl_u32 v0, v0, v21, 2
	v_bfe_u32 v16, v13, s33, 1
	; wave barrier
	v_add_u32_e32 v42, 16, v0
	ds_read_b32 v41, v0 offset:16
	v_lshl_add_u64 v[0:1], v[16:17], 0, -1
	v_cmp_ne_u32_e32 vcc, 0, v16
	v_lshrrev_b32_e32 v2, s33, v13
	s_nop 0
	v_xor_b32_e32 v1, vcc_hi, v1
	v_xor_b32_e32 v0, vcc_lo, v0
	v_and_b32_e32 v3, exec_hi, v1
	v_and_b32_e32 v16, exec_lo, v0
	v_lshlrev_b32_e32 v1, 30, v2
	v_mov_b32_e32 v0, v17
	v_cmp_gt_i64_e32 vcc, 0, v[0:1]
	v_not_b32_e32 v0, v1
	v_ashrrev_i32_e32 v0, 31, v0
	v_xor_b32_e32 v1, vcc_hi, v0
	v_xor_b32_e32 v0, vcc_lo, v0
	v_and_b32_e32 v3, v3, v1
	v_and_b32_e32 v16, v16, v0
	v_lshlrev_b32_e32 v1, 29, v2
	v_mov_b32_e32 v0, v17
	v_cmp_gt_i64_e32 vcc, 0, v[0:1]
	v_not_b32_e32 v0, v1
	v_ashrrev_i32_e32 v0, 31, v0
	v_xor_b32_e32 v1, vcc_hi, v0
	v_xor_b32_e32 v0, vcc_lo, v0
	v_and_b32_e32 v3, v3, v1
	v_and_b32_e32 v16, v16, v0
	;; [unrolled: 9-line block ×7, first 2 shown]
	v_mbcnt_lo_u32_b32 v2, v0, 0
	v_mbcnt_hi_u32_b32 v43, v1, v2
	v_cmp_eq_u32_e32 vcc, 0, v43
	v_cmp_ne_u64_e64 s[34:35], 0, v[0:1]
	s_and_b64 s[42:43], s[34:35], vcc
	; wave barrier
	s_and_saveexec_b64 s[34:35], s[42:43]
	s_cbranch_execz .LBB34_12
; %bb.11:                               ;   in Loop: Header=BB34_6 Depth=2
	v_bcnt_u32_b32 v0, v0, 0
	v_bcnt_u32_b32 v0, v1, v0
	s_waitcnt lgkmcnt(0)
	v_add_u32_e32 v0, v41, v0
	ds_write_b32 v42, v0
.LBB34_12:                              ;   in Loop: Header=BB34_6 Depth=2
	s_or_b64 exec, exec, s[34:35]
	v_bfe_u32 v0, v12, s33, 8
	v_lshlrev_b32_e32 v0, 2, v0
	v_add_lshl_u32 v0, v0, v21, 2
	v_bfe_u32 v16, v12, s33, 1
	; wave barrier
	v_add_u32_e32 v45, 16, v0
	ds_read_b32 v44, v0 offset:16
	v_lshl_add_u64 v[0:1], v[16:17], 0, -1
	v_cmp_ne_u32_e32 vcc, 0, v16
	v_lshrrev_b32_e32 v2, s33, v12
	s_nop 0
	v_xor_b32_e32 v1, vcc_hi, v1
	v_xor_b32_e32 v0, vcc_lo, v0
	v_and_b32_e32 v3, exec_hi, v1
	v_and_b32_e32 v16, exec_lo, v0
	v_lshlrev_b32_e32 v1, 30, v2
	v_mov_b32_e32 v0, v17
	v_cmp_gt_i64_e32 vcc, 0, v[0:1]
	v_not_b32_e32 v0, v1
	v_ashrrev_i32_e32 v0, 31, v0
	v_xor_b32_e32 v1, vcc_hi, v0
	v_xor_b32_e32 v0, vcc_lo, v0
	v_and_b32_e32 v3, v3, v1
	v_and_b32_e32 v16, v16, v0
	v_lshlrev_b32_e32 v1, 29, v2
	v_mov_b32_e32 v0, v17
	v_cmp_gt_i64_e32 vcc, 0, v[0:1]
	v_not_b32_e32 v0, v1
	v_ashrrev_i32_e32 v0, 31, v0
	v_xor_b32_e32 v1, vcc_hi, v0
	v_xor_b32_e32 v0, vcc_lo, v0
	v_and_b32_e32 v3, v3, v1
	v_and_b32_e32 v16, v16, v0
	;; [unrolled: 9-line block ×7, first 2 shown]
	v_mbcnt_lo_u32_b32 v2, v0, 0
	v_mbcnt_hi_u32_b32 v46, v1, v2
	v_cmp_eq_u32_e32 vcc, 0, v46
	v_cmp_ne_u64_e64 s[34:35], 0, v[0:1]
	s_and_b64 s[42:43], s[34:35], vcc
	; wave barrier
	s_and_saveexec_b64 s[34:35], s[42:43]
	s_cbranch_execz .LBB34_14
; %bb.13:                               ;   in Loop: Header=BB34_6 Depth=2
	v_bcnt_u32_b32 v0, v0, 0
	v_bcnt_u32_b32 v0, v1, v0
	s_waitcnt lgkmcnt(0)
	v_add_u32_e32 v0, v44, v0
	ds_write_b32 v45, v0
.LBB34_14:                              ;   in Loop: Header=BB34_6 Depth=2
	s_or_b64 exec, exec, s[34:35]
	v_bfe_u32 v0, v11, s33, 8
	v_lshlrev_b32_e32 v0, 2, v0
	v_add_lshl_u32 v0, v0, v21, 2
	v_bfe_u32 v16, v11, s33, 1
	; wave barrier
	v_add_u32_e32 v48, 16, v0
	ds_read_b32 v47, v0 offset:16
	v_lshl_add_u64 v[0:1], v[16:17], 0, -1
	v_cmp_ne_u32_e32 vcc, 0, v16
	v_lshrrev_b32_e32 v2, s33, v11
	s_nop 0
	v_xor_b32_e32 v1, vcc_hi, v1
	v_xor_b32_e32 v0, vcc_lo, v0
	v_and_b32_e32 v3, exec_hi, v1
	v_and_b32_e32 v16, exec_lo, v0
	v_lshlrev_b32_e32 v1, 30, v2
	v_mov_b32_e32 v0, v17
	v_cmp_gt_i64_e32 vcc, 0, v[0:1]
	v_not_b32_e32 v0, v1
	v_ashrrev_i32_e32 v0, 31, v0
	v_xor_b32_e32 v1, vcc_hi, v0
	v_xor_b32_e32 v0, vcc_lo, v0
	v_and_b32_e32 v3, v3, v1
	v_and_b32_e32 v16, v16, v0
	v_lshlrev_b32_e32 v1, 29, v2
	v_mov_b32_e32 v0, v17
	v_cmp_gt_i64_e32 vcc, 0, v[0:1]
	v_not_b32_e32 v0, v1
	v_ashrrev_i32_e32 v0, 31, v0
	v_xor_b32_e32 v1, vcc_hi, v0
	v_xor_b32_e32 v0, vcc_lo, v0
	v_and_b32_e32 v3, v3, v1
	v_and_b32_e32 v16, v16, v0
	;; [unrolled: 9-line block ×7, first 2 shown]
	v_mbcnt_lo_u32_b32 v2, v0, 0
	v_mbcnt_hi_u32_b32 v49, v1, v2
	v_cmp_eq_u32_e32 vcc, 0, v49
	v_cmp_ne_u64_e64 s[34:35], 0, v[0:1]
	s_and_b64 s[42:43], s[34:35], vcc
	; wave barrier
	s_and_saveexec_b64 s[34:35], s[42:43]
	s_cbranch_execz .LBB34_16
; %bb.15:                               ;   in Loop: Header=BB34_6 Depth=2
	v_bcnt_u32_b32 v0, v0, 0
	v_bcnt_u32_b32 v0, v1, v0
	s_waitcnt lgkmcnt(0)
	v_add_u32_e32 v0, v47, v0
	ds_write_b32 v48, v0
.LBB34_16:                              ;   in Loop: Header=BB34_6 Depth=2
	s_or_b64 exec, exec, s[34:35]
	v_bfe_u32 v0, v10, s33, 8
	v_lshlrev_b32_e32 v0, 2, v0
	v_add_lshl_u32 v0, v0, v21, 2
	v_bfe_u32 v16, v10, s33, 1
	; wave barrier
	v_add_u32_e32 v51, 16, v0
	ds_read_b32 v50, v0 offset:16
	v_lshl_add_u64 v[0:1], v[16:17], 0, -1
	v_cmp_ne_u32_e32 vcc, 0, v16
	v_lshrrev_b32_e32 v2, s33, v10
	s_nop 0
	v_xor_b32_e32 v1, vcc_hi, v1
	v_xor_b32_e32 v0, vcc_lo, v0
	v_and_b32_e32 v3, exec_hi, v1
	v_and_b32_e32 v16, exec_lo, v0
	v_lshlrev_b32_e32 v1, 30, v2
	v_mov_b32_e32 v0, v17
	v_cmp_gt_i64_e32 vcc, 0, v[0:1]
	v_not_b32_e32 v0, v1
	v_ashrrev_i32_e32 v0, 31, v0
	v_xor_b32_e32 v1, vcc_hi, v0
	v_xor_b32_e32 v0, vcc_lo, v0
	v_and_b32_e32 v3, v3, v1
	v_and_b32_e32 v16, v16, v0
	v_lshlrev_b32_e32 v1, 29, v2
	v_mov_b32_e32 v0, v17
	v_cmp_gt_i64_e32 vcc, 0, v[0:1]
	v_not_b32_e32 v0, v1
	v_ashrrev_i32_e32 v0, 31, v0
	v_xor_b32_e32 v1, vcc_hi, v0
	v_xor_b32_e32 v0, vcc_lo, v0
	v_and_b32_e32 v3, v3, v1
	v_and_b32_e32 v16, v16, v0
	;; [unrolled: 9-line block ×7, first 2 shown]
	v_mbcnt_lo_u32_b32 v2, v0, 0
	v_mbcnt_hi_u32_b32 v52, v1, v2
	v_cmp_eq_u32_e32 vcc, 0, v52
	v_cmp_ne_u64_e64 s[34:35], 0, v[0:1]
	s_and_b64 s[42:43], s[34:35], vcc
	; wave barrier
	s_and_saveexec_b64 s[34:35], s[42:43]
	s_cbranch_execz .LBB34_18
; %bb.17:                               ;   in Loop: Header=BB34_6 Depth=2
	v_bcnt_u32_b32 v0, v0, 0
	v_bcnt_u32_b32 v0, v1, v0
	s_waitcnt lgkmcnt(0)
	v_add_u32_e32 v0, v50, v0
	ds_write_b32 v51, v0
.LBB34_18:                              ;   in Loop: Header=BB34_6 Depth=2
	s_or_b64 exec, exec, s[34:35]
	v_bfe_u32 v0, v9, s33, 8
	v_lshlrev_b32_e32 v0, 2, v0
	v_add_lshl_u32 v0, v0, v21, 2
	v_bfe_u32 v16, v9, s33, 1
	; wave barrier
	v_add_u32_e32 v54, 16, v0
	ds_read_b32 v53, v0 offset:16
	v_lshl_add_u64 v[0:1], v[16:17], 0, -1
	v_cmp_ne_u32_e32 vcc, 0, v16
	v_lshrrev_b32_e32 v2, s33, v9
	s_nop 0
	v_xor_b32_e32 v1, vcc_hi, v1
	v_xor_b32_e32 v0, vcc_lo, v0
	v_and_b32_e32 v3, exec_hi, v1
	v_and_b32_e32 v16, exec_lo, v0
	v_lshlrev_b32_e32 v1, 30, v2
	v_mov_b32_e32 v0, v17
	v_cmp_gt_i64_e32 vcc, 0, v[0:1]
	v_not_b32_e32 v0, v1
	v_ashrrev_i32_e32 v0, 31, v0
	v_xor_b32_e32 v1, vcc_hi, v0
	v_xor_b32_e32 v0, vcc_lo, v0
	v_and_b32_e32 v3, v3, v1
	v_and_b32_e32 v16, v16, v0
	v_lshlrev_b32_e32 v1, 29, v2
	v_mov_b32_e32 v0, v17
	v_cmp_gt_i64_e32 vcc, 0, v[0:1]
	v_not_b32_e32 v0, v1
	v_ashrrev_i32_e32 v0, 31, v0
	v_xor_b32_e32 v1, vcc_hi, v0
	v_xor_b32_e32 v0, vcc_lo, v0
	v_and_b32_e32 v3, v3, v1
	v_and_b32_e32 v16, v16, v0
	;; [unrolled: 9-line block ×7, first 2 shown]
	v_mbcnt_lo_u32_b32 v2, v0, 0
	v_mbcnt_hi_u32_b32 v55, v1, v2
	v_cmp_eq_u32_e32 vcc, 0, v55
	v_cmp_ne_u64_e64 s[34:35], 0, v[0:1]
	s_and_b64 s[42:43], s[34:35], vcc
	; wave barrier
	s_and_saveexec_b64 s[34:35], s[42:43]
	s_cbranch_execz .LBB34_20
; %bb.19:                               ;   in Loop: Header=BB34_6 Depth=2
	v_bcnt_u32_b32 v0, v0, 0
	v_bcnt_u32_b32 v0, v1, v0
	s_waitcnt lgkmcnt(0)
	v_add_u32_e32 v0, v53, v0
	ds_write_b32 v54, v0
.LBB34_20:                              ;   in Loop: Header=BB34_6 Depth=2
	s_or_b64 exec, exec, s[34:35]
	v_bfe_u32 v0, v8, s33, 8
	v_lshlrev_b32_e32 v0, 2, v0
	v_add_lshl_u32 v0, v0, v21, 2
	v_bfe_u32 v16, v8, s33, 1
	; wave barrier
	v_add_u32_e32 v57, 16, v0
	ds_read_b32 v56, v0 offset:16
	v_lshl_add_u64 v[0:1], v[16:17], 0, -1
	v_cmp_ne_u32_e32 vcc, 0, v16
	v_lshrrev_b32_e32 v2, s33, v8
	s_nop 0
	v_xor_b32_e32 v1, vcc_hi, v1
	v_xor_b32_e32 v0, vcc_lo, v0
	v_and_b32_e32 v3, exec_hi, v1
	v_and_b32_e32 v16, exec_lo, v0
	v_lshlrev_b32_e32 v1, 30, v2
	v_mov_b32_e32 v0, v17
	v_cmp_gt_i64_e32 vcc, 0, v[0:1]
	v_not_b32_e32 v0, v1
	v_ashrrev_i32_e32 v0, 31, v0
	v_xor_b32_e32 v1, vcc_hi, v0
	v_xor_b32_e32 v0, vcc_lo, v0
	v_and_b32_e32 v3, v3, v1
	v_and_b32_e32 v16, v16, v0
	v_lshlrev_b32_e32 v1, 29, v2
	v_mov_b32_e32 v0, v17
	v_cmp_gt_i64_e32 vcc, 0, v[0:1]
	v_not_b32_e32 v0, v1
	v_ashrrev_i32_e32 v0, 31, v0
	v_xor_b32_e32 v1, vcc_hi, v0
	v_xor_b32_e32 v0, vcc_lo, v0
	v_and_b32_e32 v3, v3, v1
	v_and_b32_e32 v16, v16, v0
	;; [unrolled: 9-line block ×7, first 2 shown]
	v_mbcnt_lo_u32_b32 v2, v0, 0
	v_mbcnt_hi_u32_b32 v16, v1, v2
	v_cmp_eq_u32_e32 vcc, 0, v16
	v_cmp_ne_u64_e64 s[34:35], 0, v[0:1]
	s_and_b64 s[42:43], s[34:35], vcc
	; wave barrier
	s_and_saveexec_b64 s[34:35], s[42:43]
	s_cbranch_execz .LBB34_22
; %bb.21:                               ;   in Loop: Header=BB34_6 Depth=2
	v_bcnt_u32_b32 v0, v0, 0
	v_bcnt_u32_b32 v0, v1, v0
	s_waitcnt lgkmcnt(0)
	v_add_u32_e32 v0, v56, v0
	ds_write_b32 v57, v0
.LBB34_22:                              ;   in Loop: Header=BB34_6 Depth=2
	s_or_b64 exec, exec, s[34:35]
	; wave barrier
	s_waitcnt lgkmcnt(0)
	s_barrier
	ds_read2_b64 v[0:3], v20 offset0:2 offset1:3
	s_waitcnt lgkmcnt(0)
	v_add_u32_e32 v58, v1, v0
	v_add3_u32 v3, v58, v2, v3
	s_nop 1
	v_mov_b32_dpp v58, v3 row_shr:1 row_mask:0xf bank_mask:0xf
	v_cndmask_b32_e64 v58, v58, 0, s[30:31]
	v_add_u32_e32 v3, v58, v3
	s_nop 1
	v_mov_b32_dpp v58, v3 row_shr:2 row_mask:0xf bank_mask:0xf
	v_cndmask_b32_e64 v58, 0, v58, s[4:5]
	v_add_u32_e32 v3, v3, v58
	;; [unrolled: 4-line block ×4, first 2 shown]
	s_nop 1
	v_mov_b32_dpp v58, v3 row_bcast:15 row_mask:0xf bank_mask:0xf
	v_cndmask_b32_e64 v58, v58, 0, s[10:11]
	v_add_u32_e32 v3, v3, v58
	s_nop 1
	v_mov_b32_dpp v58, v3 row_bcast:31 row_mask:0xf bank_mask:0xf
	v_cndmask_b32_e64 v58, 0, v58, s[12:13]
	v_add_u32_e32 v3, v3, v58
	s_and_saveexec_b64 s[34:35], s[14:15]
	s_cbranch_execz .LBB34_24
; %bb.23:                               ;   in Loop: Header=BB34_6 Depth=2
	ds_write_b32 v24, v3
.LBB34_24:                              ;   in Loop: Header=BB34_6 Depth=2
	s_or_b64 exec, exec, s[34:35]
	s_waitcnt lgkmcnt(0)
	s_barrier
	s_and_saveexec_b64 s[34:35], s[16:17]
	s_cbranch_execz .LBB34_26
; %bb.25:                               ;   in Loop: Header=BB34_6 Depth=2
	ds_read_b32 v58, v25
	s_waitcnt lgkmcnt(0)
	s_nop 0
	v_mov_b32_dpp v59, v58 row_shr:1 row_mask:0xf bank_mask:0xf
	v_cndmask_b32_e64 v59, v59, 0, s[26:27]
	v_add_u32_e32 v58, v59, v58
	s_nop 1
	v_mov_b32_dpp v59, v58 row_shr:2 row_mask:0xf bank_mask:0xf
	v_cndmask_b32_e64 v59, 0, v59, s[28:29]
	v_add_u32_e32 v58, v58, v59
	ds_write_b32 v25, v58
.LBB34_26:                              ;   in Loop: Header=BB34_6 Depth=2
	s_or_b64 exec, exec, s[34:35]
	v_mov_b32_e32 v58, 0
	s_waitcnt lgkmcnt(0)
	s_barrier
	s_and_saveexec_b64 s[34:35], s[18:19]
	s_cbranch_execz .LBB34_28
; %bb.27:                               ;   in Loop: Header=BB34_6 Depth=2
	ds_read_b32 v58, v26
.LBB34_28:                              ;   in Loop: Header=BB34_6 Depth=2
	s_or_b64 exec, exec, s[34:35]
	s_waitcnt lgkmcnt(0)
	v_add_u32_e32 v3, v58, v3
	ds_bpermute_b32 v3, v22, v3
	s_cmp_gt_u32 s33, 23
	s_waitcnt lgkmcnt(0)
	v_cndmask_b32_e64 v3, v3, v58, s[20:21]
	v_cndmask_b32_e64 v58, v3, 0, s[22:23]
	v_add_u32_e32 v59, v58, v0
	v_add_u32_e32 v0, v59, v1
	;; [unrolled: 1-line block ×3, first 2 shown]
	ds_write2_b64 v20, v[58:59], v[0:1] offset0:2 offset1:3
	s_waitcnt lgkmcnt(0)
	s_barrier
	ds_read_b32 v0, v4
	ds_read_b32 v1, v7
	;; [unrolled: 1-line block ×8, first 2 shown]
	s_waitcnt lgkmcnt(7)
	v_add_u32_e32 v51, v0, v5
	s_waitcnt lgkmcnt(6)
	v_add3_u32 v48, v40, v6, v1
	s_waitcnt lgkmcnt(5)
	v_add3_u32 v45, v43, v41, v2
	;; [unrolled: 2-line block ×7, first 2 shown]
	s_cbranch_scc0 .LBB34_5
; %bb.29:                               ;   in Loop: Header=BB34_2 Depth=1
                                        ; implicit-def: $vgpr7
                                        ; implicit-def: $vgpr5
                                        ; implicit-def: $vgpr3
                                        ; implicit-def: $vgpr1
                                        ; implicit-def: $sgpr33
.LBB34_30:                              ;   in Loop: Header=BB34_2 Depth=1
	v_lshlrev_b32_e32 v0, 2, v51
	s_barrier
	ds_write_b32 v0, v39
	v_lshlrev_b32_e32 v0, 2, v48
	ds_write_b32 v0, v38
	v_lshlrev_b32_e32 v0, 2, v45
	;; [unrolled: 2-line block ×7, first 2 shown]
	ds_write_b32 v0, v8
	s_waitcnt lgkmcnt(0)
	s_barrier
	ds_read2_b64 v[10:13], v27 offset1:1
	ds_read2_b64 v[0:3], v27 offset0:2 offset1:3
	s_waitcnt lgkmcnt(0)
	s_barrier
	s_and_saveexec_b64 s[34:35], s[0:1]
	s_cbranch_execz .LBB34_32
; %bb.31:                               ;   in Loop: Header=BB34_2 Depth=1
	ds_write2st64_b32 v35, v37, v37 offset0:8 offset1:12
.LBB34_32:                              ;   in Loop: Header=BB34_2 Depth=1
	s_or_b64 exec, exec, s[34:35]
	v_xor_b32_e32 v5, 0x80000000, v3
	v_xor_b32_e32 v4, 0x80000000, v2
	v_cmp_ne_u32_e32 vcc, v2, v3
	v_mov_b32_e32 v2, v5
	s_waitcnt lgkmcnt(0)
	s_barrier
	ds_write_b32 v25, v5
	s_and_saveexec_b64 s[34:35], vcc
	s_cbranch_execz .LBB34_34
; %bb.33:                               ;   in Loop: Header=BB34_2 Depth=1
	v_lshlrev_b32_e32 v2, 2, v5
	v_lshlrev_b32_e32 v3, 2, v4
	ds_write_b32 v2, v34 offset:2048
	ds_write_b32 v3, v34 offset:3072
	v_mov_b32_e32 v2, v4
.LBB34_34:                              ;   in Loop: Header=BB34_2 Depth=1
	s_or_b64 exec, exec, s[34:35]
	v_xor_b32_e32 v3, 0x80000000, v1
	v_cmp_ne_u32_e32 vcc, v3, v2
	v_lshlrev_b32_e32 v6, 2, v3
	s_and_saveexec_b64 s[34:35], vcc
	s_cbranch_execz .LBB34_36
; %bb.35:                               ;   in Loop: Header=BB34_2 Depth=1
	v_lshlrev_b32_e32 v2, 2, v2
	ds_write_b32 v2, v33 offset:2048
	ds_write_b32 v6, v33 offset:3072
.LBB34_36:                              ;   in Loop: Header=BB34_2 Depth=1
	s_or_b64 exec, exec, s[34:35]
	v_xor_b32_e32 v2, 0x80000000, v0
	v_cmp_ne_u32_e32 vcc, v0, v1
	v_lshlrev_b32_e32 v1, 2, v2
	s_and_saveexec_b64 s[34:35], vcc
	s_cbranch_execz .LBB34_38
; %bb.37:                               ;   in Loop: Header=BB34_2 Depth=1
	ds_write_b32 v6, v32 offset:2048
	ds_write_b32 v1, v32 offset:3072
.LBB34_38:                              ;   in Loop: Header=BB34_2 Depth=1
	s_or_b64 exec, exec, s[34:35]
	v_xor_b32_e32 v9, 0x80000000, v13
	v_xor_b32_e32 v8, 0x80000000, v12
	v_cmp_ne_u32_e32 vcc, v13, v0
	v_lshlrev_b32_e32 v6, 2, v9
	s_and_saveexec_b64 s[34:35], vcc
	s_cbranch_execz .LBB34_40
; %bb.39:                               ;   in Loop: Header=BB34_2 Depth=1
	ds_write_b32 v1, v31 offset:2048
	ds_write_b32 v6, v31 offset:3072
.LBB34_40:                              ;   in Loop: Header=BB34_2 Depth=1
	s_or_b64 exec, exec, s[34:35]
	v_cmp_ne_u32_e32 vcc, v12, v13
	v_lshlrev_b32_e32 v0, 2, v8
	s_and_saveexec_b64 s[34:35], vcc
	s_cbranch_execz .LBB34_42
; %bb.41:                               ;   in Loop: Header=BB34_2 Depth=1
	ds_write_b32 v6, v30 offset:2048
	ds_write_b32 v0, v30 offset:3072
.LBB34_42:                              ;   in Loop: Header=BB34_2 Depth=1
	s_or_b64 exec, exec, s[34:35]
	v_xor_b32_e32 v7, 0x80000000, v11
	v_xor_b32_e32 v6, 0x80000000, v10
	v_cmp_ne_u32_e32 vcc, v11, v12
	v_lshlrev_b32_e32 v1, 2, v7
	s_and_saveexec_b64 s[34:35], vcc
	s_cbranch_execz .LBB34_44
; %bb.43:                               ;   in Loop: Header=BB34_2 Depth=1
	ds_write_b32 v0, v29 offset:2048
	ds_write_b32 v1, v29 offset:3072
.LBB34_44:                              ;   in Loop: Header=BB34_2 Depth=1
	s_or_b64 exec, exec, s[34:35]
	v_cmp_ne_u32_e32 vcc, v10, v11
	v_lshlrev_b32_e32 v0, 2, v6
	s_and_saveexec_b64 s[34:35], vcc
	s_cbranch_execz .LBB34_46
; %bb.45:                               ;   in Loop: Header=BB34_2 Depth=1
	ds_write_b32 v1, v28 offset:2048
	ds_write_b32 v0, v28 offset:3072
.LBB34_46:                              ;   in Loop: Header=BB34_2 Depth=1
	s_or_b64 exec, exec, s[34:35]
	s_waitcnt lgkmcnt(0)
	s_barrier
	s_and_saveexec_b64 s[34:35], s[24:25]
	s_cbranch_execz .LBB34_49
; %bb.47:                               ;   in Loop: Header=BB34_2 Depth=1
	ds_read_b32 v1, v36
	s_waitcnt lgkmcnt(0)
	v_cmp_ne_u32_e32 vcc, v1, v6
	s_and_b64 exec, exec, vcc
	s_cbranch_execz .LBB34_49
; %bb.48:                               ;   in Loop: Header=BB34_2 Depth=1
	ds_write_b32 v0, v15 offset:2048
	ds_read_b32 v1, v36
	s_waitcnt lgkmcnt(0)
	v_lshlrev_b32_e32 v1, 2, v1
	ds_write_b32 v1, v15 offset:3072
.LBB34_49:                              ;   in Loop: Header=BB34_2 Depth=1
	s_or_b64 exec, exec, s[34:35]
	s_waitcnt lgkmcnt(0)
	s_barrier
	s_and_saveexec_b64 s[34:35], s[22:23]
	s_cbranch_execz .LBB34_51
; %bb.50:                               ;   in Loop: Header=BB34_2 Depth=1
	ds_write_b32 v0, v17 offset:2048
.LBB34_51:                              ;   in Loop: Header=BB34_2 Depth=1
	s_or_b64 exec, exec, s[34:35]
	s_waitcnt lgkmcnt(0)
	s_barrier
	s_and_saveexec_b64 s[34:35], s[0:1]
	s_cbranch_execz .LBB34_1
; %bb.52:                               ;   in Loop: Header=BB34_2 Depth=1
	ds_read2st64_b32 v[0:1], v35 offset0:8 offset1:12
	ds_read_b32 v10, v23
	s_waitcnt lgkmcnt(1)
	v_sub_u32_e32 v0, v1, v0
	s_waitcnt lgkmcnt(0)
	v_add_u32_e32 v0, v0, v10
	ds_write_b32 v23, v0
	s_branch .LBB34_1
.LBB34_53:
	s_and_saveexec_b64 s[4:5], s[0:1]
	s_cbranch_execz .LBB34_55
; %bb.54:
	ds_read_b32 v4, v23
	v_mov_b32_e32 v0, s38
	v_mov_b32_e32 v1, s39
	v_lshl_or_b32 v2, s2, 8, v14
	v_mov_b32_e32 v3, 0
	v_lshl_add_u64 v[0:1], v[2:3], 2, v[0:1]
	s_waitcnt lgkmcnt(0)
	global_store_dword v[0:1], v4, off
.LBB34_55:
	s_endpgm
	.section	.rodata,"a",@progbits
	.p2align	6, 0x0
	.amdhsa_kernel _Z6kernelI9histogramILN6hipcub23BlockHistogramAlgorithmE1EEiLj256ELj8ELj256ELj100EEvPKT0_PS4_
		.amdhsa_group_segment_fixed_size 9216
		.amdhsa_private_segment_fixed_size 0
		.amdhsa_kernarg_size 272
		.amdhsa_user_sgpr_count 2
		.amdhsa_user_sgpr_dispatch_ptr 0
		.amdhsa_user_sgpr_queue_ptr 0
		.amdhsa_user_sgpr_kernarg_segment_ptr 1
		.amdhsa_user_sgpr_dispatch_id 0
		.amdhsa_user_sgpr_kernarg_preload_length 0
		.amdhsa_user_sgpr_kernarg_preload_offset 0
		.amdhsa_user_sgpr_private_segment_size 0
		.amdhsa_uses_dynamic_stack 0
		.amdhsa_enable_private_segment 0
		.amdhsa_system_sgpr_workgroup_id_x 1
		.amdhsa_system_sgpr_workgroup_id_y 0
		.amdhsa_system_sgpr_workgroup_id_z 0
		.amdhsa_system_sgpr_workgroup_info 0
		.amdhsa_system_vgpr_workitem_id 2
		.amdhsa_next_free_vgpr 60
		.amdhsa_next_free_sgpr 44
		.amdhsa_accum_offset 60
		.amdhsa_reserve_vcc 1
		.amdhsa_float_round_mode_32 0
		.amdhsa_float_round_mode_16_64 0
		.amdhsa_float_denorm_mode_32 3
		.amdhsa_float_denorm_mode_16_64 3
		.amdhsa_dx10_clamp 1
		.amdhsa_ieee_mode 1
		.amdhsa_fp16_overflow 0
		.amdhsa_tg_split 0
		.amdhsa_exception_fp_ieee_invalid_op 0
		.amdhsa_exception_fp_denorm_src 0
		.amdhsa_exception_fp_ieee_div_zero 0
		.amdhsa_exception_fp_ieee_overflow 0
		.amdhsa_exception_fp_ieee_underflow 0
		.amdhsa_exception_fp_ieee_inexact 0
		.amdhsa_exception_int_div_zero 0
	.end_amdhsa_kernel
	.section	.text._Z6kernelI9histogramILN6hipcub23BlockHistogramAlgorithmE1EEiLj256ELj8ELj256ELj100EEvPKT0_PS4_,"axG",@progbits,_Z6kernelI9histogramILN6hipcub23BlockHistogramAlgorithmE1EEiLj256ELj8ELj256ELj100EEvPKT0_PS4_,comdat
.Lfunc_end34:
	.size	_Z6kernelI9histogramILN6hipcub23BlockHistogramAlgorithmE1EEiLj256ELj8ELj256ELj100EEvPKT0_PS4_, .Lfunc_end34-_Z6kernelI9histogramILN6hipcub23BlockHistogramAlgorithmE1EEiLj256ELj8ELj256ELj100EEvPKT0_PS4_
                                        ; -- End function
	.section	.AMDGPU.csdata,"",@progbits
; Kernel info:
; codeLenInByte = 5340
; NumSgprs: 50
; NumVgprs: 60
; NumAgprs: 0
; TotalNumVgprs: 60
; ScratchSize: 0
; MemoryBound: 0
; FloatMode: 240
; IeeeMode: 1
; LDSByteSize: 9216 bytes/workgroup (compile time only)
; SGPRBlocks: 6
; VGPRBlocks: 7
; NumSGPRsForWavesPerEU: 50
; NumVGPRsForWavesPerEU: 60
; AccumOffset: 60
; Occupancy: 7
; WaveLimiterHint : 0
; COMPUTE_PGM_RSRC2:SCRATCH_EN: 0
; COMPUTE_PGM_RSRC2:USER_SGPR: 2
; COMPUTE_PGM_RSRC2:TRAP_HANDLER: 0
; COMPUTE_PGM_RSRC2:TGID_X_EN: 1
; COMPUTE_PGM_RSRC2:TGID_Y_EN: 0
; COMPUTE_PGM_RSRC2:TGID_Z_EN: 0
; COMPUTE_PGM_RSRC2:TIDIG_COMP_CNT: 2
; COMPUTE_PGM_RSRC3_GFX90A:ACCUM_OFFSET: 14
; COMPUTE_PGM_RSRC3_GFX90A:TG_SPLIT: 0
	.section	.text._Z6kernelI9histogramILN6hipcub23BlockHistogramAlgorithmE1EEiLj256ELj16ELj256ELj100EEvPKT0_PS4_,"axG",@progbits,_Z6kernelI9histogramILN6hipcub23BlockHistogramAlgorithmE1EEiLj256ELj16ELj256ELj100EEvPKT0_PS4_,comdat
	.protected	_Z6kernelI9histogramILN6hipcub23BlockHistogramAlgorithmE1EEiLj256ELj16ELj256ELj100EEvPKT0_PS4_ ; -- Begin function _Z6kernelI9histogramILN6hipcub23BlockHistogramAlgorithmE1EEiLj256ELj16ELj256ELj100EEvPKT0_PS4_
	.globl	_Z6kernelI9histogramILN6hipcub23BlockHistogramAlgorithmE1EEiLj256ELj16ELj256ELj100EEvPKT0_PS4_
	.p2align	8
	.type	_Z6kernelI9histogramILN6hipcub23BlockHistogramAlgorithmE1EEiLj256ELj16ELj256ELj100EEvPKT0_PS4_,@function
_Z6kernelI9histogramILN6hipcub23BlockHistogramAlgorithmE1EEiLj256ELj16ELj256ELj100EEvPKT0_PS4_: ; @_Z6kernelI9histogramILN6hipcub23BlockHistogramAlgorithmE1EEiLj256ELj16ELj256ELj100EEvPKT0_PS4_
; %bb.0:
	s_load_dwordx4 s[36:39], s[0:1], 0x0
	s_load_dword s3, s[0:1], 0x1c
	v_and_b32_e32 v16, 0x3ff, v0
	v_lshlrev_b32_e32 v17, 4, v16
	v_lshl_or_b32 v18, s2, 12, v17
	s_waitcnt lgkmcnt(0)
	v_mov_b32_e32 v2, s36
	v_mov_b32_e32 v3, s37
	;; [unrolled: 1-line block ×3, first 2 shown]
	v_lshl_add_u64 v[14:15], v[18:19], 2, v[2:3]
	global_load_dwordx4 v[2:5], v[14:15], off
	global_load_dwordx4 v[6:9], v[14:15], off offset:16
	global_load_dwordx4 v[10:13], v[14:15], off offset:32
	;; [unrolled: 1-line block ×3, first 2 shown]
	v_mbcnt_lo_u32_b32 v1, -1, 0
	v_mbcnt_hi_u32_b32 v1, -1, v1
	v_and_b32_e32 v27, 16, v1
	v_cmp_eq_u32_e64 s[22:23], 0, v27
	v_mad_i32_i24 v27, v16, -12, v17
	s_movk_i32 s33, 0xffc4
	v_add_u32_e32 v28, -1, v1
	v_and_b32_e32 v29, 64, v1
	v_mad_u32_u24 v46, v16, 60, v27
	s_movk_i32 s14, 0xc00
	v_mov_b32_e32 v14, 0x4000
	v_bfe_u32 v15, v0, 10, 10
	v_bfe_u32 v0, v0, 20, 10
	v_and_b32_e32 v18, 0xc0, v16
	v_cmp_lt_i32_e32 vcc, v28, v29
	v_mad_i32_i24 v47, v16, s33, v46
	s_lshr_b32 s33, s3, 16
	v_and_b32_e32 v26, 15, v1
	v_cmp_lt_u32_e64 s[30:31], 31, v1
	v_cmp_eq_u32_e64 s[8:9], 0, v1
	v_and_b32_e32 v31, 3, v1
	v_lshl_or_b32 v24, v16, 2, v14
	v_add_lshl_u32 v25, v1, v18, 6
	v_and_or_b32 v14, v17, s14, v1
	v_cndmask_b32_e32 v1, v28, v1, vcc
	s_and_b32 s3, s3, 0xffff
	v_mad_u32_u24 v0, v0, s33, v15
	s_mov_b32 s36, 0
	v_lshrrev_b32_e32 v30, 4, v16
	v_lshlrev_b32_e32 v44, 2, v1
	v_mad_u64_u32 v[0:1], s[34:35], v0, s3, v[16:17]
	s_movk_i32 s0, 0x100
	v_cmp_eq_u32_e64 s[14:15], 0, v26
	v_cmp_lt_u32_e64 s[16:17], 1, v26
	v_cmp_lt_u32_e64 s[18:19], 3, v26
	;; [unrolled: 1-line block ×3, first 2 shown]
	v_or_b32_e32 v18, 63, v18
	v_and_b32_e32 v26, 12, v30
	s_mov_b32 s37, s36
	s_mov_b32 s34, s36
	;; [unrolled: 1-line block ×3, first 2 shown]
	v_cmp_gt_u32_e64 s[0:1], s0, v16
	v_cmp_gt_u32_e64 s[4:5], 4, v16
	v_cmp_lt_u32_e64 s[6:7], 63, v16
	v_cmp_eq_u32_e64 s[10:11], 0, v16
	v_cmp_ne_u32_e64 s[12:13], 0, v16
	v_cmp_eq_u32_e64 s[24:25], 0, v31
	v_cmp_lt_u32_e64 s[26:27], 1, v31
	v_or_b32_e32 v28, 1, v17
	v_or_b32_e32 v29, 2, v17
	;; [unrolled: 1-line block ×15, first 2 shown]
	v_lshlrev_b32_e32 v43, 2, v14
	v_cmp_eq_u32_e64 s[28:29], v18, v16
	v_add_u32_e32 v45, -4, v26
	v_add_u32_e32 v48, -4, v47
	v_lshrrev_b32_e32 v49, 6, v0
	v_mov_b32_e32 v50, 0x1000
	s_waitcnt vmcnt(3)
	v_xor_b32_e32 v1, 0x80000000, v3
	v_xor_b32_e32 v0, 0x80000000, v2
	v_xor_b32_e32 v3, 0x80000000, v5
	v_xor_b32_e32 v2, 0x80000000, v4
	s_waitcnt vmcnt(2)
	v_xor_b32_e32 v5, 0x80000000, v7
	v_xor_b32_e32 v4, 0x80000000, v6
	v_xor_b32_e32 v7, 0x80000000, v9
	v_xor_b32_e32 v6, 0x80000000, v8
	;; [unrolled: 5-line block ×4, first 2 shown]
	v_mov_b64_e32 v[20:21], s[36:37]
	v_mov_b64_e32 v[22:23], s[34:35]
	s_branch .LBB35_2
.LBB35_1:                               ;   in Loop: Header=BB35_2 Depth=1
	s_or_b64 exec, exec, s[34:35]
	s_add_i32 s36, s36, 1
	s_cmpk_eq_i32 s36, 0x64
	s_cbranch_scc1 .LBB35_85
.LBB35_2:                               ; =>This Loop Header: Depth=1
                                        ;     Child Loop BB35_6 Depth 2
	s_and_saveexec_b64 s[34:35], s[0:1]
	s_cbranch_execz .LBB35_4
; %bb.3:                                ;   in Loop: Header=BB35_2 Depth=1
	ds_write_b32 v24, v19
.LBB35_4:                               ;   in Loop: Header=BB35_2 Depth=1
	s_or_b64 exec, exec, s[34:35]
	s_waitcnt lgkmcnt(0)
	s_barrier
	ds_write2_b64 v25, v[0:1], v[2:3] offset1:1
	ds_write2_b64 v25, v[4:5], v[6:7] offset0:2 offset1:3
	ds_write2_b64 v25, v[8:9], v[10:11] offset0:4 offset1:5
	ds_write2_b64 v25, v[12:13], v[14:15] offset0:6 offset1:7
	; wave barrier
	ds_read2st64_b32 v[0:1], v43 offset1:1
	ds_read2st64_b32 v[2:3], v43 offset0:2 offset1:3
	ds_read2st64_b32 v[4:5], v43 offset0:4 offset1:5
	ds_read2st64_b32 v[6:7], v43 offset0:6 offset1:7
	ds_read2st64_b32 v[8:9], v43 offset0:8 offset1:9
	ds_read2st64_b32 v[10:11], v43 offset0:10 offset1:11
	ds_read2st64_b32 v[12:13], v43 offset0:12 offset1:13
	ds_read2st64_b32 v[14:15], v43 offset0:14 offset1:15
	s_mov_b32 s3, 0
	s_waitcnt lgkmcnt(0)
	s_barrier
	s_waitcnt lgkmcnt(0)
	; wave barrier
	s_barrier
	s_branch .LBB35_6
.LBB35_5:                               ;   in Loop: Header=BB35_6 Depth=2
	v_lshlrev_b32_e32 v0, 2, v102
	s_barrier
	ds_write_b32 v0, v66
	v_lshlrev_b32_e32 v0, 2, v101
	ds_write_b32 v0, v65
	v_lshlrev_b32_e32 v0, 2, v76
	;; [unrolled: 2-line block ×15, first 2 shown]
	ds_write_b32 v0, v51
	s_waitcnt lgkmcnt(0)
	s_barrier
	ds_read2st64_b32 v[0:1], v43 offset1:1
	ds_read2st64_b32 v[2:3], v43 offset0:2 offset1:3
	ds_read2st64_b32 v[4:5], v43 offset0:4 offset1:5
	;; [unrolled: 1-line block ×7, first 2 shown]
	s_add_i32 s3, s3, 8
	s_waitcnt lgkmcnt(0)
	s_barrier
	s_cbranch_execz .LBB35_46
.LBB35_6:                               ;   Parent Loop BB35_2 Depth=1
                                        ; =>  This Inner Loop Header: Depth=2
	v_mov_b32_e32 v66, v0
	v_bfe_u32 v0, v66, s3, 8
	v_lshl_add_u32 v0, v0, 2, v49
	v_bfe_u32 v18, v66, s3, 1
	v_mov_b32_e32 v65, v1
	v_mov_b32_e32 v62, v4
	v_lshl_add_u32 v4, v0, 2, 16
	v_lshl_add_u64 v[0:1], v[18:19], 0, -1
	v_cmp_ne_u32_e32 vcc, 0, v18
	v_mov_b32_e32 v64, v2
	v_lshrrev_b32_e32 v2, s3, v66
	v_xor_b32_e32 v1, vcc_hi, v1
	v_xor_b32_e32 v0, vcc_lo, v0
	v_mov_b32_e32 v63, v3
	v_mov_b32_e32 v61, v5
	v_and_b32_e32 v3, exec_hi, v1
	v_and_b32_e32 v5, exec_lo, v0
	v_lshlrev_b32_e32 v1, 30, v2
	v_mov_b32_e32 v0, v19
	v_cmp_gt_i64_e32 vcc, 0, v[0:1]
	v_not_b32_e32 v0, v1
	v_ashrrev_i32_e32 v0, 31, v0
	v_xor_b32_e32 v1, vcc_hi, v0
	v_xor_b32_e32 v0, vcc_lo, v0
	v_and_b32_e32 v3, v3, v1
	v_and_b32_e32 v5, v5, v0
	v_lshlrev_b32_e32 v1, 29, v2
	v_mov_b32_e32 v0, v19
	v_cmp_gt_i64_e32 vcc, 0, v[0:1]
	v_not_b32_e32 v0, v1
	v_ashrrev_i32_e32 v0, 31, v0
	v_xor_b32_e32 v1, vcc_hi, v0
	v_xor_b32_e32 v0, vcc_lo, v0
	v_and_b32_e32 v3, v3, v1
	v_and_b32_e32 v5, v5, v0
	;; [unrolled: 9-line block ×7, first 2 shown]
	v_mbcnt_lo_u32_b32 v2, v0, 0
	v_mbcnt_hi_u32_b32 v5, v1, v2
	v_cmp_eq_u32_e32 vcc, 0, v5
	v_cmp_ne_u64_e64 s[34:35], 0, v[0:1]
	v_mov_b32_e32 v60, v6
	v_mov_b32_e32 v59, v7
	;; [unrolled: 1-line block ×10, first 2 shown]
	s_and_b64 s[40:41], s[34:35], vcc
	ds_write2_b64 v17, v[20:21], v[22:23] offset0:2 offset1:3
	s_waitcnt lgkmcnt(0)
	s_barrier
	s_waitcnt lgkmcnt(0)
	; wave barrier
	s_and_saveexec_b64 s[34:35], s[40:41]
	s_cbranch_execz .LBB35_8
; %bb.7:                                ;   in Loop: Header=BB35_6 Depth=2
	v_bcnt_u32_b32 v0, v0, 0
	v_bcnt_u32_b32 v0, v1, v0
	ds_write_b32 v4, v0
.LBB35_8:                               ;   in Loop: Header=BB35_6 Depth=2
	s_or_b64 exec, exec, s[34:35]
	v_bfe_u32 v0, v65, s3, 8
	v_lshlrev_b32_e32 v0, 2, v0
	v_add_lshl_u32 v0, v0, v49, 2
	v_bfe_u32 v18, v65, s3, 1
	; wave barrier
	v_add_u32_e32 v7, 16, v0
	ds_read_b32 v6, v0 offset:16
	v_lshl_add_u64 v[0:1], v[18:19], 0, -1
	v_cmp_ne_u32_e32 vcc, 0, v18
	v_lshrrev_b32_e32 v2, s3, v65
	s_nop 0
	v_xor_b32_e32 v1, vcc_hi, v1
	v_xor_b32_e32 v0, vcc_lo, v0
	v_and_b32_e32 v3, exec_hi, v1
	v_and_b32_e32 v8, exec_lo, v0
	v_lshlrev_b32_e32 v1, 30, v2
	v_mov_b32_e32 v0, v19
	v_cmp_gt_i64_e32 vcc, 0, v[0:1]
	v_not_b32_e32 v0, v1
	v_ashrrev_i32_e32 v0, 31, v0
	v_xor_b32_e32 v1, vcc_hi, v0
	v_xor_b32_e32 v0, vcc_lo, v0
	v_and_b32_e32 v3, v3, v1
	v_and_b32_e32 v8, v8, v0
	v_lshlrev_b32_e32 v1, 29, v2
	v_mov_b32_e32 v0, v19
	v_cmp_gt_i64_e32 vcc, 0, v[0:1]
	v_not_b32_e32 v0, v1
	v_ashrrev_i32_e32 v0, 31, v0
	v_xor_b32_e32 v1, vcc_hi, v0
	v_xor_b32_e32 v0, vcc_lo, v0
	v_and_b32_e32 v3, v3, v1
	v_and_b32_e32 v8, v8, v0
	;; [unrolled: 9-line block ×7, first 2 shown]
	v_mbcnt_lo_u32_b32 v2, v0, 0
	v_mbcnt_hi_u32_b32 v8, v1, v2
	v_cmp_eq_u32_e32 vcc, 0, v8
	v_cmp_ne_u64_e64 s[34:35], 0, v[0:1]
	s_and_b64 s[40:41], s[34:35], vcc
	; wave barrier
	s_and_saveexec_b64 s[34:35], s[40:41]
	s_cbranch_execz .LBB35_10
; %bb.9:                                ;   in Loop: Header=BB35_6 Depth=2
	v_bcnt_u32_b32 v0, v0, 0
	v_bcnt_u32_b32 v0, v1, v0
	s_waitcnt lgkmcnt(0)
	v_add_u32_e32 v0, v6, v0
	ds_write_b32 v7, v0
.LBB35_10:                              ;   in Loop: Header=BB35_6 Depth=2
	s_or_b64 exec, exec, s[34:35]
	v_bfe_u32 v0, v64, s3, 8
	v_lshlrev_b32_e32 v0, 2, v0
	v_add_lshl_u32 v0, v0, v49, 2
	v_bfe_u32 v18, v64, s3, 1
	; wave barrier
	v_add_u32_e32 v10, 16, v0
	ds_read_b32 v9, v0 offset:16
	v_lshl_add_u64 v[0:1], v[18:19], 0, -1
	v_cmp_ne_u32_e32 vcc, 0, v18
	v_lshrrev_b32_e32 v2, s3, v64
	s_nop 0
	v_xor_b32_e32 v1, vcc_hi, v1
	v_xor_b32_e32 v0, vcc_lo, v0
	v_and_b32_e32 v3, exec_hi, v1
	v_and_b32_e32 v11, exec_lo, v0
	v_lshlrev_b32_e32 v1, 30, v2
	v_mov_b32_e32 v0, v19
	v_cmp_gt_i64_e32 vcc, 0, v[0:1]
	v_not_b32_e32 v0, v1
	v_ashrrev_i32_e32 v0, 31, v0
	v_xor_b32_e32 v1, vcc_hi, v0
	v_xor_b32_e32 v0, vcc_lo, v0
	v_and_b32_e32 v3, v3, v1
	v_and_b32_e32 v11, v11, v0
	v_lshlrev_b32_e32 v1, 29, v2
	v_mov_b32_e32 v0, v19
	v_cmp_gt_i64_e32 vcc, 0, v[0:1]
	v_not_b32_e32 v0, v1
	v_ashrrev_i32_e32 v0, 31, v0
	v_xor_b32_e32 v1, vcc_hi, v0
	v_xor_b32_e32 v0, vcc_lo, v0
	v_and_b32_e32 v3, v3, v1
	v_and_b32_e32 v11, v11, v0
	;; [unrolled: 9-line block ×7, first 2 shown]
	v_mbcnt_lo_u32_b32 v2, v0, 0
	v_mbcnt_hi_u32_b32 v11, v1, v2
	v_cmp_eq_u32_e32 vcc, 0, v11
	v_cmp_ne_u64_e64 s[34:35], 0, v[0:1]
	s_and_b64 s[40:41], s[34:35], vcc
	; wave barrier
	s_and_saveexec_b64 s[34:35], s[40:41]
	s_cbranch_execz .LBB35_12
; %bb.11:                               ;   in Loop: Header=BB35_6 Depth=2
	v_bcnt_u32_b32 v0, v0, 0
	v_bcnt_u32_b32 v0, v1, v0
	s_waitcnt lgkmcnt(0)
	v_add_u32_e32 v0, v9, v0
	ds_write_b32 v10, v0
.LBB35_12:                              ;   in Loop: Header=BB35_6 Depth=2
	s_or_b64 exec, exec, s[34:35]
	v_bfe_u32 v0, v63, s3, 8
	v_lshlrev_b32_e32 v0, 2, v0
	v_add_lshl_u32 v0, v0, v49, 2
	v_bfe_u32 v18, v63, s3, 1
	; wave barrier
	v_add_u32_e32 v13, 16, v0
	ds_read_b32 v12, v0 offset:16
	v_lshl_add_u64 v[0:1], v[18:19], 0, -1
	v_cmp_ne_u32_e32 vcc, 0, v18
	v_lshrrev_b32_e32 v2, s3, v63
	s_nop 0
	v_xor_b32_e32 v1, vcc_hi, v1
	v_xor_b32_e32 v0, vcc_lo, v0
	v_and_b32_e32 v3, exec_hi, v1
	v_and_b32_e32 v14, exec_lo, v0
	v_lshlrev_b32_e32 v1, 30, v2
	v_mov_b32_e32 v0, v19
	v_cmp_gt_i64_e32 vcc, 0, v[0:1]
	v_not_b32_e32 v0, v1
	v_ashrrev_i32_e32 v0, 31, v0
	v_xor_b32_e32 v1, vcc_hi, v0
	v_xor_b32_e32 v0, vcc_lo, v0
	v_and_b32_e32 v3, v3, v1
	v_and_b32_e32 v14, v14, v0
	v_lshlrev_b32_e32 v1, 29, v2
	v_mov_b32_e32 v0, v19
	v_cmp_gt_i64_e32 vcc, 0, v[0:1]
	v_not_b32_e32 v0, v1
	v_ashrrev_i32_e32 v0, 31, v0
	v_xor_b32_e32 v1, vcc_hi, v0
	v_xor_b32_e32 v0, vcc_lo, v0
	v_and_b32_e32 v3, v3, v1
	v_and_b32_e32 v14, v14, v0
	;; [unrolled: 9-line block ×7, first 2 shown]
	v_mbcnt_lo_u32_b32 v2, v0, 0
	v_mbcnt_hi_u32_b32 v14, v1, v2
	v_cmp_eq_u32_e32 vcc, 0, v14
	v_cmp_ne_u64_e64 s[34:35], 0, v[0:1]
	s_and_b64 s[40:41], s[34:35], vcc
	; wave barrier
	s_and_saveexec_b64 s[34:35], s[40:41]
	s_cbranch_execz .LBB35_14
; %bb.13:                               ;   in Loop: Header=BB35_6 Depth=2
	v_bcnt_u32_b32 v0, v0, 0
	v_bcnt_u32_b32 v0, v1, v0
	s_waitcnt lgkmcnt(0)
	v_add_u32_e32 v0, v12, v0
	ds_write_b32 v13, v0
.LBB35_14:                              ;   in Loop: Header=BB35_6 Depth=2
	s_or_b64 exec, exec, s[34:35]
	v_bfe_u32 v0, v62, s3, 8
	v_lshlrev_b32_e32 v0, 2, v0
	v_add_lshl_u32 v0, v0, v49, 2
	v_bfe_u32 v18, v62, s3, 1
	; wave barrier
	v_add_u32_e32 v67, 16, v0
	ds_read_b32 v15, v0 offset:16
	v_lshl_add_u64 v[0:1], v[18:19], 0, -1
	v_cmp_ne_u32_e32 vcc, 0, v18
	v_lshrrev_b32_e32 v2, s3, v62
	s_nop 0
	v_xor_b32_e32 v1, vcc_hi, v1
	v_xor_b32_e32 v0, vcc_lo, v0
	v_and_b32_e32 v3, exec_hi, v1
	v_and_b32_e32 v18, exec_lo, v0
	v_lshlrev_b32_e32 v1, 30, v2
	v_mov_b32_e32 v0, v19
	v_cmp_gt_i64_e32 vcc, 0, v[0:1]
	v_not_b32_e32 v0, v1
	v_ashrrev_i32_e32 v0, 31, v0
	v_xor_b32_e32 v1, vcc_hi, v0
	v_xor_b32_e32 v0, vcc_lo, v0
	v_and_b32_e32 v3, v3, v1
	v_and_b32_e32 v18, v18, v0
	v_lshlrev_b32_e32 v1, 29, v2
	v_mov_b32_e32 v0, v19
	v_cmp_gt_i64_e32 vcc, 0, v[0:1]
	v_not_b32_e32 v0, v1
	v_ashrrev_i32_e32 v0, 31, v0
	v_xor_b32_e32 v1, vcc_hi, v0
	v_xor_b32_e32 v0, vcc_lo, v0
	v_and_b32_e32 v3, v3, v1
	v_and_b32_e32 v18, v18, v0
	v_lshlrev_b32_e32 v1, 28, v2
	v_mov_b32_e32 v0, v19
	v_cmp_gt_i64_e32 vcc, 0, v[0:1]
	v_not_b32_e32 v0, v1
	v_ashrrev_i32_e32 v0, 31, v0
	v_xor_b32_e32 v1, vcc_hi, v0
	v_xor_b32_e32 v0, vcc_lo, v0
	v_and_b32_e32 v3, v3, v1
	v_and_b32_e32 v18, v18, v0
	v_lshlrev_b32_e32 v1, 27, v2
	v_mov_b32_e32 v0, v19
	v_cmp_gt_i64_e32 vcc, 0, v[0:1]
	v_not_b32_e32 v0, v1
	v_ashrrev_i32_e32 v0, 31, v0
	v_xor_b32_e32 v1, vcc_hi, v0
	v_xor_b32_e32 v0, vcc_lo, v0
	v_and_b32_e32 v3, v3, v1
	v_and_b32_e32 v18, v18, v0
	v_lshlrev_b32_e32 v1, 26, v2
	v_mov_b32_e32 v0, v19
	v_cmp_gt_i64_e32 vcc, 0, v[0:1]
	v_not_b32_e32 v0, v1
	v_ashrrev_i32_e32 v0, 31, v0
	v_xor_b32_e32 v1, vcc_hi, v0
	v_xor_b32_e32 v0, vcc_lo, v0
	v_and_b32_e32 v3, v3, v1
	v_and_b32_e32 v18, v18, v0
	v_lshlrev_b32_e32 v1, 25, v2
	v_mov_b32_e32 v0, v19
	v_cmp_gt_i64_e32 vcc, 0, v[0:1]
	v_not_b32_e32 v0, v1
	v_ashrrev_i32_e32 v0, 31, v0
	v_xor_b32_e32 v1, vcc_hi, v0
	v_xor_b32_e32 v0, vcc_lo, v0
	v_and_b32_e32 v3, v3, v1
	v_and_b32_e32 v18, v18, v0
	v_lshlrev_b32_e32 v1, 24, v2
	v_mov_b32_e32 v0, v19
	v_cmp_gt_i64_e32 vcc, 0, v[0:1]
	v_not_b32_e32 v0, v1
	v_ashrrev_i32_e32 v0, 31, v0
	v_xor_b32_e32 v1, vcc_hi, v0
	v_xor_b32_e32 v0, vcc_lo, v0
	v_and_b32_e32 v0, v18, v0
	v_and_b32_e32 v1, v3, v1
	v_mbcnt_lo_u32_b32 v2, v0, 0
	v_mbcnt_hi_u32_b32 v68, v1, v2
	v_cmp_eq_u32_e32 vcc, 0, v68
	v_cmp_ne_u64_e64 s[34:35], 0, v[0:1]
	s_and_b64 s[40:41], s[34:35], vcc
	; wave barrier
	s_and_saveexec_b64 s[34:35], s[40:41]
	s_cbranch_execz .LBB35_16
; %bb.15:                               ;   in Loop: Header=BB35_6 Depth=2
	v_bcnt_u32_b32 v0, v0, 0
	v_bcnt_u32_b32 v0, v1, v0
	s_waitcnt lgkmcnt(0)
	v_add_u32_e32 v0, v15, v0
	ds_write_b32 v67, v0
.LBB35_16:                              ;   in Loop: Header=BB35_6 Depth=2
	s_or_b64 exec, exec, s[34:35]
	v_bfe_u32 v0, v61, s3, 8
	v_lshlrev_b32_e32 v0, 2, v0
	v_add_lshl_u32 v0, v0, v49, 2
	v_bfe_u32 v18, v61, s3, 1
	; wave barrier
	v_add_u32_e32 v70, 16, v0
	ds_read_b32 v69, v0 offset:16
	v_lshl_add_u64 v[0:1], v[18:19], 0, -1
	v_cmp_ne_u32_e32 vcc, 0, v18
	v_lshrrev_b32_e32 v2, s3, v61
	s_nop 0
	v_xor_b32_e32 v1, vcc_hi, v1
	v_xor_b32_e32 v0, vcc_lo, v0
	v_and_b32_e32 v3, exec_hi, v1
	v_and_b32_e32 v18, exec_lo, v0
	v_lshlrev_b32_e32 v1, 30, v2
	v_mov_b32_e32 v0, v19
	v_cmp_gt_i64_e32 vcc, 0, v[0:1]
	v_not_b32_e32 v0, v1
	v_ashrrev_i32_e32 v0, 31, v0
	v_xor_b32_e32 v1, vcc_hi, v0
	v_xor_b32_e32 v0, vcc_lo, v0
	v_and_b32_e32 v3, v3, v1
	v_and_b32_e32 v18, v18, v0
	v_lshlrev_b32_e32 v1, 29, v2
	v_mov_b32_e32 v0, v19
	v_cmp_gt_i64_e32 vcc, 0, v[0:1]
	v_not_b32_e32 v0, v1
	v_ashrrev_i32_e32 v0, 31, v0
	v_xor_b32_e32 v1, vcc_hi, v0
	v_xor_b32_e32 v0, vcc_lo, v0
	v_and_b32_e32 v3, v3, v1
	v_and_b32_e32 v18, v18, v0
	;; [unrolled: 9-line block ×7, first 2 shown]
	v_mbcnt_lo_u32_b32 v2, v0, 0
	v_mbcnt_hi_u32_b32 v71, v1, v2
	v_cmp_eq_u32_e32 vcc, 0, v71
	v_cmp_ne_u64_e64 s[34:35], 0, v[0:1]
	s_and_b64 s[40:41], s[34:35], vcc
	; wave barrier
	s_and_saveexec_b64 s[34:35], s[40:41]
	s_cbranch_execz .LBB35_18
; %bb.17:                               ;   in Loop: Header=BB35_6 Depth=2
	v_bcnt_u32_b32 v0, v0, 0
	v_bcnt_u32_b32 v0, v1, v0
	s_waitcnt lgkmcnt(0)
	v_add_u32_e32 v0, v69, v0
	ds_write_b32 v70, v0
.LBB35_18:                              ;   in Loop: Header=BB35_6 Depth=2
	s_or_b64 exec, exec, s[34:35]
	v_bfe_u32 v0, v60, s3, 8
	v_lshlrev_b32_e32 v0, 2, v0
	v_add_lshl_u32 v0, v0, v49, 2
	v_bfe_u32 v18, v60, s3, 1
	; wave barrier
	v_add_u32_e32 v73, 16, v0
	ds_read_b32 v72, v0 offset:16
	v_lshl_add_u64 v[0:1], v[18:19], 0, -1
	v_cmp_ne_u32_e32 vcc, 0, v18
	v_lshrrev_b32_e32 v2, s3, v60
	s_nop 0
	v_xor_b32_e32 v1, vcc_hi, v1
	v_xor_b32_e32 v0, vcc_lo, v0
	v_and_b32_e32 v3, exec_hi, v1
	v_and_b32_e32 v18, exec_lo, v0
	v_lshlrev_b32_e32 v1, 30, v2
	v_mov_b32_e32 v0, v19
	v_cmp_gt_i64_e32 vcc, 0, v[0:1]
	v_not_b32_e32 v0, v1
	v_ashrrev_i32_e32 v0, 31, v0
	v_xor_b32_e32 v1, vcc_hi, v0
	v_xor_b32_e32 v0, vcc_lo, v0
	v_and_b32_e32 v3, v3, v1
	v_and_b32_e32 v18, v18, v0
	v_lshlrev_b32_e32 v1, 29, v2
	v_mov_b32_e32 v0, v19
	v_cmp_gt_i64_e32 vcc, 0, v[0:1]
	v_not_b32_e32 v0, v1
	v_ashrrev_i32_e32 v0, 31, v0
	v_xor_b32_e32 v1, vcc_hi, v0
	v_xor_b32_e32 v0, vcc_lo, v0
	v_and_b32_e32 v3, v3, v1
	v_and_b32_e32 v18, v18, v0
	;; [unrolled: 9-line block ×7, first 2 shown]
	v_mbcnt_lo_u32_b32 v2, v0, 0
	v_mbcnt_hi_u32_b32 v74, v1, v2
	v_cmp_eq_u32_e32 vcc, 0, v74
	v_cmp_ne_u64_e64 s[34:35], 0, v[0:1]
	s_and_b64 s[40:41], s[34:35], vcc
	; wave barrier
	s_and_saveexec_b64 s[34:35], s[40:41]
	s_cbranch_execz .LBB35_20
; %bb.19:                               ;   in Loop: Header=BB35_6 Depth=2
	v_bcnt_u32_b32 v0, v0, 0
	v_bcnt_u32_b32 v0, v1, v0
	s_waitcnt lgkmcnt(0)
	v_add_u32_e32 v0, v72, v0
	ds_write_b32 v73, v0
.LBB35_20:                              ;   in Loop: Header=BB35_6 Depth=2
	s_or_b64 exec, exec, s[34:35]
	v_bfe_u32 v0, v59, s3, 8
	v_lshlrev_b32_e32 v0, 2, v0
	v_add_lshl_u32 v0, v0, v49, 2
	v_bfe_u32 v18, v59, s3, 1
	; wave barrier
	v_add_u32_e32 v76, 16, v0
	ds_read_b32 v75, v0 offset:16
	v_lshl_add_u64 v[0:1], v[18:19], 0, -1
	v_cmp_ne_u32_e32 vcc, 0, v18
	v_lshrrev_b32_e32 v2, s3, v59
	s_nop 0
	v_xor_b32_e32 v1, vcc_hi, v1
	v_xor_b32_e32 v0, vcc_lo, v0
	v_and_b32_e32 v3, exec_hi, v1
	v_and_b32_e32 v18, exec_lo, v0
	v_lshlrev_b32_e32 v1, 30, v2
	v_mov_b32_e32 v0, v19
	v_cmp_gt_i64_e32 vcc, 0, v[0:1]
	v_not_b32_e32 v0, v1
	v_ashrrev_i32_e32 v0, 31, v0
	v_xor_b32_e32 v1, vcc_hi, v0
	v_xor_b32_e32 v0, vcc_lo, v0
	v_and_b32_e32 v3, v3, v1
	v_and_b32_e32 v18, v18, v0
	v_lshlrev_b32_e32 v1, 29, v2
	v_mov_b32_e32 v0, v19
	v_cmp_gt_i64_e32 vcc, 0, v[0:1]
	v_not_b32_e32 v0, v1
	v_ashrrev_i32_e32 v0, 31, v0
	v_xor_b32_e32 v1, vcc_hi, v0
	v_xor_b32_e32 v0, vcc_lo, v0
	v_and_b32_e32 v3, v3, v1
	v_and_b32_e32 v18, v18, v0
	;; [unrolled: 9-line block ×7, first 2 shown]
	v_mbcnt_lo_u32_b32 v2, v0, 0
	v_mbcnt_hi_u32_b32 v77, v1, v2
	v_cmp_eq_u32_e32 vcc, 0, v77
	v_cmp_ne_u64_e64 s[34:35], 0, v[0:1]
	s_and_b64 s[40:41], s[34:35], vcc
	; wave barrier
	s_and_saveexec_b64 s[34:35], s[40:41]
	s_cbranch_execz .LBB35_22
; %bb.21:                               ;   in Loop: Header=BB35_6 Depth=2
	v_bcnt_u32_b32 v0, v0, 0
	v_bcnt_u32_b32 v0, v1, v0
	s_waitcnt lgkmcnt(0)
	v_add_u32_e32 v0, v75, v0
	ds_write_b32 v76, v0
.LBB35_22:                              ;   in Loop: Header=BB35_6 Depth=2
	s_or_b64 exec, exec, s[34:35]
	v_bfe_u32 v0, v58, s3, 8
	v_lshlrev_b32_e32 v0, 2, v0
	v_add_lshl_u32 v0, v0, v49, 2
	v_bfe_u32 v18, v58, s3, 1
	; wave barrier
	v_add_u32_e32 v79, 16, v0
	ds_read_b32 v78, v0 offset:16
	v_lshl_add_u64 v[0:1], v[18:19], 0, -1
	v_cmp_ne_u32_e32 vcc, 0, v18
	v_lshrrev_b32_e32 v2, s3, v58
	s_nop 0
	v_xor_b32_e32 v1, vcc_hi, v1
	v_xor_b32_e32 v0, vcc_lo, v0
	v_and_b32_e32 v3, exec_hi, v1
	v_and_b32_e32 v18, exec_lo, v0
	v_lshlrev_b32_e32 v1, 30, v2
	v_mov_b32_e32 v0, v19
	v_cmp_gt_i64_e32 vcc, 0, v[0:1]
	v_not_b32_e32 v0, v1
	v_ashrrev_i32_e32 v0, 31, v0
	v_xor_b32_e32 v1, vcc_hi, v0
	v_xor_b32_e32 v0, vcc_lo, v0
	v_and_b32_e32 v3, v3, v1
	v_and_b32_e32 v18, v18, v0
	v_lshlrev_b32_e32 v1, 29, v2
	v_mov_b32_e32 v0, v19
	v_cmp_gt_i64_e32 vcc, 0, v[0:1]
	v_not_b32_e32 v0, v1
	v_ashrrev_i32_e32 v0, 31, v0
	v_xor_b32_e32 v1, vcc_hi, v0
	v_xor_b32_e32 v0, vcc_lo, v0
	v_and_b32_e32 v3, v3, v1
	v_and_b32_e32 v18, v18, v0
	;; [unrolled: 9-line block ×7, first 2 shown]
	v_mbcnt_lo_u32_b32 v2, v0, 0
	v_mbcnt_hi_u32_b32 v80, v1, v2
	v_cmp_eq_u32_e32 vcc, 0, v80
	v_cmp_ne_u64_e64 s[34:35], 0, v[0:1]
	s_and_b64 s[40:41], s[34:35], vcc
	; wave barrier
	s_and_saveexec_b64 s[34:35], s[40:41]
	s_cbranch_execz .LBB35_24
; %bb.23:                               ;   in Loop: Header=BB35_6 Depth=2
	v_bcnt_u32_b32 v0, v0, 0
	v_bcnt_u32_b32 v0, v1, v0
	s_waitcnt lgkmcnt(0)
	v_add_u32_e32 v0, v78, v0
	ds_write_b32 v79, v0
.LBB35_24:                              ;   in Loop: Header=BB35_6 Depth=2
	s_or_b64 exec, exec, s[34:35]
	v_bfe_u32 v0, v57, s3, 8
	v_lshlrev_b32_e32 v0, 2, v0
	v_add_lshl_u32 v0, v0, v49, 2
	v_bfe_u32 v18, v57, s3, 1
	; wave barrier
	v_add_u32_e32 v82, 16, v0
	ds_read_b32 v81, v0 offset:16
	v_lshl_add_u64 v[0:1], v[18:19], 0, -1
	v_cmp_ne_u32_e32 vcc, 0, v18
	v_lshrrev_b32_e32 v2, s3, v57
	s_nop 0
	v_xor_b32_e32 v1, vcc_hi, v1
	v_xor_b32_e32 v0, vcc_lo, v0
	v_and_b32_e32 v3, exec_hi, v1
	v_and_b32_e32 v18, exec_lo, v0
	v_lshlrev_b32_e32 v1, 30, v2
	v_mov_b32_e32 v0, v19
	v_cmp_gt_i64_e32 vcc, 0, v[0:1]
	v_not_b32_e32 v0, v1
	v_ashrrev_i32_e32 v0, 31, v0
	v_xor_b32_e32 v1, vcc_hi, v0
	v_xor_b32_e32 v0, vcc_lo, v0
	v_and_b32_e32 v3, v3, v1
	v_and_b32_e32 v18, v18, v0
	v_lshlrev_b32_e32 v1, 29, v2
	v_mov_b32_e32 v0, v19
	v_cmp_gt_i64_e32 vcc, 0, v[0:1]
	v_not_b32_e32 v0, v1
	v_ashrrev_i32_e32 v0, 31, v0
	v_xor_b32_e32 v1, vcc_hi, v0
	v_xor_b32_e32 v0, vcc_lo, v0
	v_and_b32_e32 v3, v3, v1
	v_and_b32_e32 v18, v18, v0
	;; [unrolled: 9-line block ×7, first 2 shown]
	v_mbcnt_lo_u32_b32 v2, v0, 0
	v_mbcnt_hi_u32_b32 v83, v1, v2
	v_cmp_eq_u32_e32 vcc, 0, v83
	v_cmp_ne_u64_e64 s[34:35], 0, v[0:1]
	s_and_b64 s[40:41], s[34:35], vcc
	; wave barrier
	s_and_saveexec_b64 s[34:35], s[40:41]
	s_cbranch_execz .LBB35_26
; %bb.25:                               ;   in Loop: Header=BB35_6 Depth=2
	v_bcnt_u32_b32 v0, v0, 0
	v_bcnt_u32_b32 v0, v1, v0
	s_waitcnt lgkmcnt(0)
	v_add_u32_e32 v0, v81, v0
	ds_write_b32 v82, v0
.LBB35_26:                              ;   in Loop: Header=BB35_6 Depth=2
	s_or_b64 exec, exec, s[34:35]
	v_bfe_u32 v0, v56, s3, 8
	v_lshlrev_b32_e32 v0, 2, v0
	v_add_lshl_u32 v0, v0, v49, 2
	v_bfe_u32 v18, v56, s3, 1
	; wave barrier
	v_add_u32_e32 v85, 16, v0
	ds_read_b32 v84, v0 offset:16
	v_lshl_add_u64 v[0:1], v[18:19], 0, -1
	v_cmp_ne_u32_e32 vcc, 0, v18
	v_lshrrev_b32_e32 v2, s3, v56
	s_nop 0
	v_xor_b32_e32 v1, vcc_hi, v1
	v_xor_b32_e32 v0, vcc_lo, v0
	v_and_b32_e32 v3, exec_hi, v1
	v_and_b32_e32 v18, exec_lo, v0
	v_lshlrev_b32_e32 v1, 30, v2
	v_mov_b32_e32 v0, v19
	v_cmp_gt_i64_e32 vcc, 0, v[0:1]
	v_not_b32_e32 v0, v1
	v_ashrrev_i32_e32 v0, 31, v0
	v_xor_b32_e32 v1, vcc_hi, v0
	v_xor_b32_e32 v0, vcc_lo, v0
	v_and_b32_e32 v3, v3, v1
	v_and_b32_e32 v18, v18, v0
	v_lshlrev_b32_e32 v1, 29, v2
	v_mov_b32_e32 v0, v19
	v_cmp_gt_i64_e32 vcc, 0, v[0:1]
	v_not_b32_e32 v0, v1
	v_ashrrev_i32_e32 v0, 31, v0
	v_xor_b32_e32 v1, vcc_hi, v0
	v_xor_b32_e32 v0, vcc_lo, v0
	v_and_b32_e32 v3, v3, v1
	v_and_b32_e32 v18, v18, v0
	;; [unrolled: 9-line block ×7, first 2 shown]
	v_mbcnt_lo_u32_b32 v2, v0, 0
	v_mbcnt_hi_u32_b32 v86, v1, v2
	v_cmp_eq_u32_e32 vcc, 0, v86
	v_cmp_ne_u64_e64 s[34:35], 0, v[0:1]
	s_and_b64 s[40:41], s[34:35], vcc
	; wave barrier
	s_and_saveexec_b64 s[34:35], s[40:41]
	s_cbranch_execz .LBB35_28
; %bb.27:                               ;   in Loop: Header=BB35_6 Depth=2
	v_bcnt_u32_b32 v0, v0, 0
	v_bcnt_u32_b32 v0, v1, v0
	s_waitcnt lgkmcnt(0)
	v_add_u32_e32 v0, v84, v0
	ds_write_b32 v85, v0
.LBB35_28:                              ;   in Loop: Header=BB35_6 Depth=2
	s_or_b64 exec, exec, s[34:35]
	v_bfe_u32 v0, v55, s3, 8
	v_lshlrev_b32_e32 v0, 2, v0
	v_add_lshl_u32 v0, v0, v49, 2
	v_bfe_u32 v18, v55, s3, 1
	; wave barrier
	v_add_u32_e32 v88, 16, v0
	ds_read_b32 v87, v0 offset:16
	v_lshl_add_u64 v[0:1], v[18:19], 0, -1
	v_cmp_ne_u32_e32 vcc, 0, v18
	v_lshrrev_b32_e32 v2, s3, v55
	s_nop 0
	v_xor_b32_e32 v1, vcc_hi, v1
	v_xor_b32_e32 v0, vcc_lo, v0
	v_and_b32_e32 v3, exec_hi, v1
	v_and_b32_e32 v18, exec_lo, v0
	v_lshlrev_b32_e32 v1, 30, v2
	v_mov_b32_e32 v0, v19
	v_cmp_gt_i64_e32 vcc, 0, v[0:1]
	v_not_b32_e32 v0, v1
	v_ashrrev_i32_e32 v0, 31, v0
	v_xor_b32_e32 v1, vcc_hi, v0
	v_xor_b32_e32 v0, vcc_lo, v0
	v_and_b32_e32 v3, v3, v1
	v_and_b32_e32 v18, v18, v0
	v_lshlrev_b32_e32 v1, 29, v2
	v_mov_b32_e32 v0, v19
	v_cmp_gt_i64_e32 vcc, 0, v[0:1]
	v_not_b32_e32 v0, v1
	v_ashrrev_i32_e32 v0, 31, v0
	v_xor_b32_e32 v1, vcc_hi, v0
	v_xor_b32_e32 v0, vcc_lo, v0
	v_and_b32_e32 v3, v3, v1
	v_and_b32_e32 v18, v18, v0
	;; [unrolled: 9-line block ×7, first 2 shown]
	v_mbcnt_lo_u32_b32 v2, v0, 0
	v_mbcnt_hi_u32_b32 v89, v1, v2
	v_cmp_eq_u32_e32 vcc, 0, v89
	v_cmp_ne_u64_e64 s[34:35], 0, v[0:1]
	s_and_b64 s[40:41], s[34:35], vcc
	; wave barrier
	s_and_saveexec_b64 s[34:35], s[40:41]
	s_cbranch_execz .LBB35_30
; %bb.29:                               ;   in Loop: Header=BB35_6 Depth=2
	v_bcnt_u32_b32 v0, v0, 0
	v_bcnt_u32_b32 v0, v1, v0
	s_waitcnt lgkmcnt(0)
	v_add_u32_e32 v0, v87, v0
	ds_write_b32 v88, v0
.LBB35_30:                              ;   in Loop: Header=BB35_6 Depth=2
	s_or_b64 exec, exec, s[34:35]
	v_bfe_u32 v0, v54, s3, 8
	v_lshlrev_b32_e32 v0, 2, v0
	v_add_lshl_u32 v0, v0, v49, 2
	v_bfe_u32 v18, v54, s3, 1
	; wave barrier
	v_add_u32_e32 v91, 16, v0
	ds_read_b32 v90, v0 offset:16
	v_lshl_add_u64 v[0:1], v[18:19], 0, -1
	v_cmp_ne_u32_e32 vcc, 0, v18
	v_lshrrev_b32_e32 v2, s3, v54
	s_nop 0
	v_xor_b32_e32 v1, vcc_hi, v1
	v_xor_b32_e32 v0, vcc_lo, v0
	v_and_b32_e32 v3, exec_hi, v1
	v_and_b32_e32 v18, exec_lo, v0
	v_lshlrev_b32_e32 v1, 30, v2
	v_mov_b32_e32 v0, v19
	v_cmp_gt_i64_e32 vcc, 0, v[0:1]
	v_not_b32_e32 v0, v1
	v_ashrrev_i32_e32 v0, 31, v0
	v_xor_b32_e32 v1, vcc_hi, v0
	v_xor_b32_e32 v0, vcc_lo, v0
	v_and_b32_e32 v3, v3, v1
	v_and_b32_e32 v18, v18, v0
	v_lshlrev_b32_e32 v1, 29, v2
	v_mov_b32_e32 v0, v19
	v_cmp_gt_i64_e32 vcc, 0, v[0:1]
	v_not_b32_e32 v0, v1
	v_ashrrev_i32_e32 v0, 31, v0
	v_xor_b32_e32 v1, vcc_hi, v0
	v_xor_b32_e32 v0, vcc_lo, v0
	v_and_b32_e32 v3, v3, v1
	v_and_b32_e32 v18, v18, v0
	v_lshlrev_b32_e32 v1, 28, v2
	v_mov_b32_e32 v0, v19
	v_cmp_gt_i64_e32 vcc, 0, v[0:1]
	v_not_b32_e32 v0, v1
	v_ashrrev_i32_e32 v0, 31, v0
	v_xor_b32_e32 v1, vcc_hi, v0
	v_xor_b32_e32 v0, vcc_lo, v0
	v_and_b32_e32 v3, v3, v1
	v_and_b32_e32 v18, v18, v0
	v_lshlrev_b32_e32 v1, 27, v2
	v_mov_b32_e32 v0, v19
	v_cmp_gt_i64_e32 vcc, 0, v[0:1]
	v_not_b32_e32 v0, v1
	v_ashrrev_i32_e32 v0, 31, v0
	v_xor_b32_e32 v1, vcc_hi, v0
	v_xor_b32_e32 v0, vcc_lo, v0
	v_and_b32_e32 v3, v3, v1
	v_and_b32_e32 v18, v18, v0
	v_lshlrev_b32_e32 v1, 26, v2
	v_mov_b32_e32 v0, v19
	v_cmp_gt_i64_e32 vcc, 0, v[0:1]
	v_not_b32_e32 v0, v1
	v_ashrrev_i32_e32 v0, 31, v0
	v_xor_b32_e32 v1, vcc_hi, v0
	v_xor_b32_e32 v0, vcc_lo, v0
	v_and_b32_e32 v3, v3, v1
	v_and_b32_e32 v18, v18, v0
	v_lshlrev_b32_e32 v1, 25, v2
	v_mov_b32_e32 v0, v19
	v_cmp_gt_i64_e32 vcc, 0, v[0:1]
	v_not_b32_e32 v0, v1
	v_ashrrev_i32_e32 v0, 31, v0
	v_xor_b32_e32 v1, vcc_hi, v0
	v_xor_b32_e32 v0, vcc_lo, v0
	v_and_b32_e32 v3, v3, v1
	v_and_b32_e32 v18, v18, v0
	v_lshlrev_b32_e32 v1, 24, v2
	v_mov_b32_e32 v0, v19
	v_cmp_gt_i64_e32 vcc, 0, v[0:1]
	v_not_b32_e32 v0, v1
	v_ashrrev_i32_e32 v0, 31, v0
	v_xor_b32_e32 v1, vcc_hi, v0
	v_xor_b32_e32 v0, vcc_lo, v0
	v_and_b32_e32 v0, v18, v0
	v_and_b32_e32 v1, v3, v1
	v_mbcnt_lo_u32_b32 v2, v0, 0
	v_mbcnt_hi_u32_b32 v92, v1, v2
	v_cmp_eq_u32_e32 vcc, 0, v92
	v_cmp_ne_u64_e64 s[34:35], 0, v[0:1]
	s_and_b64 s[40:41], s[34:35], vcc
	; wave barrier
	s_and_saveexec_b64 s[34:35], s[40:41]
	s_cbranch_execz .LBB35_32
; %bb.31:                               ;   in Loop: Header=BB35_6 Depth=2
	v_bcnt_u32_b32 v0, v0, 0
	v_bcnt_u32_b32 v0, v1, v0
	s_waitcnt lgkmcnt(0)
	v_add_u32_e32 v0, v90, v0
	ds_write_b32 v91, v0
.LBB35_32:                              ;   in Loop: Header=BB35_6 Depth=2
	s_or_b64 exec, exec, s[34:35]
	v_bfe_u32 v0, v53, s3, 8
	v_lshlrev_b32_e32 v0, 2, v0
	v_add_lshl_u32 v0, v0, v49, 2
	v_bfe_u32 v18, v53, s3, 1
	; wave barrier
	v_add_u32_e32 v94, 16, v0
	ds_read_b32 v93, v0 offset:16
	v_lshl_add_u64 v[0:1], v[18:19], 0, -1
	v_cmp_ne_u32_e32 vcc, 0, v18
	v_lshrrev_b32_e32 v2, s3, v53
	s_nop 0
	v_xor_b32_e32 v1, vcc_hi, v1
	v_xor_b32_e32 v0, vcc_lo, v0
	v_and_b32_e32 v3, exec_hi, v1
	v_and_b32_e32 v18, exec_lo, v0
	v_lshlrev_b32_e32 v1, 30, v2
	v_mov_b32_e32 v0, v19
	v_cmp_gt_i64_e32 vcc, 0, v[0:1]
	v_not_b32_e32 v0, v1
	v_ashrrev_i32_e32 v0, 31, v0
	v_xor_b32_e32 v1, vcc_hi, v0
	v_xor_b32_e32 v0, vcc_lo, v0
	v_and_b32_e32 v3, v3, v1
	v_and_b32_e32 v18, v18, v0
	v_lshlrev_b32_e32 v1, 29, v2
	v_mov_b32_e32 v0, v19
	v_cmp_gt_i64_e32 vcc, 0, v[0:1]
	v_not_b32_e32 v0, v1
	v_ashrrev_i32_e32 v0, 31, v0
	v_xor_b32_e32 v1, vcc_hi, v0
	v_xor_b32_e32 v0, vcc_lo, v0
	v_and_b32_e32 v3, v3, v1
	v_and_b32_e32 v18, v18, v0
	;; [unrolled: 9-line block ×7, first 2 shown]
	v_mbcnt_lo_u32_b32 v2, v0, 0
	v_mbcnt_hi_u32_b32 v95, v1, v2
	v_cmp_eq_u32_e32 vcc, 0, v95
	v_cmp_ne_u64_e64 s[34:35], 0, v[0:1]
	s_and_b64 s[40:41], s[34:35], vcc
	; wave barrier
	s_and_saveexec_b64 s[34:35], s[40:41]
	s_cbranch_execz .LBB35_34
; %bb.33:                               ;   in Loop: Header=BB35_6 Depth=2
	v_bcnt_u32_b32 v0, v0, 0
	v_bcnt_u32_b32 v0, v1, v0
	s_waitcnt lgkmcnt(0)
	v_add_u32_e32 v0, v93, v0
	ds_write_b32 v94, v0
.LBB35_34:                              ;   in Loop: Header=BB35_6 Depth=2
	s_or_b64 exec, exec, s[34:35]
	v_bfe_u32 v0, v52, s3, 8
	v_lshlrev_b32_e32 v0, 2, v0
	v_add_lshl_u32 v0, v0, v49, 2
	v_bfe_u32 v18, v52, s3, 1
	; wave barrier
	v_add_u32_e32 v97, 16, v0
	ds_read_b32 v96, v0 offset:16
	v_lshl_add_u64 v[0:1], v[18:19], 0, -1
	v_cmp_ne_u32_e32 vcc, 0, v18
	v_lshrrev_b32_e32 v2, s3, v52
	s_nop 0
	v_xor_b32_e32 v1, vcc_hi, v1
	v_xor_b32_e32 v0, vcc_lo, v0
	v_and_b32_e32 v3, exec_hi, v1
	v_and_b32_e32 v18, exec_lo, v0
	v_lshlrev_b32_e32 v1, 30, v2
	v_mov_b32_e32 v0, v19
	v_cmp_gt_i64_e32 vcc, 0, v[0:1]
	v_not_b32_e32 v0, v1
	v_ashrrev_i32_e32 v0, 31, v0
	v_xor_b32_e32 v1, vcc_hi, v0
	v_xor_b32_e32 v0, vcc_lo, v0
	v_and_b32_e32 v3, v3, v1
	v_and_b32_e32 v18, v18, v0
	v_lshlrev_b32_e32 v1, 29, v2
	v_mov_b32_e32 v0, v19
	v_cmp_gt_i64_e32 vcc, 0, v[0:1]
	v_not_b32_e32 v0, v1
	v_ashrrev_i32_e32 v0, 31, v0
	v_xor_b32_e32 v1, vcc_hi, v0
	v_xor_b32_e32 v0, vcc_lo, v0
	v_and_b32_e32 v3, v3, v1
	v_and_b32_e32 v18, v18, v0
	;; [unrolled: 9-line block ×7, first 2 shown]
	v_mbcnt_lo_u32_b32 v2, v0, 0
	v_mbcnt_hi_u32_b32 v98, v1, v2
	v_cmp_eq_u32_e32 vcc, 0, v98
	v_cmp_ne_u64_e64 s[34:35], 0, v[0:1]
	s_and_b64 s[40:41], s[34:35], vcc
	; wave barrier
	s_and_saveexec_b64 s[34:35], s[40:41]
	s_cbranch_execz .LBB35_36
; %bb.35:                               ;   in Loop: Header=BB35_6 Depth=2
	v_bcnt_u32_b32 v0, v0, 0
	v_bcnt_u32_b32 v0, v1, v0
	s_waitcnt lgkmcnt(0)
	v_add_u32_e32 v0, v96, v0
	ds_write_b32 v97, v0
.LBB35_36:                              ;   in Loop: Header=BB35_6 Depth=2
	s_or_b64 exec, exec, s[34:35]
	v_bfe_u32 v0, v51, s3, 8
	v_lshlrev_b32_e32 v0, 2, v0
	v_add_lshl_u32 v0, v0, v49, 2
	v_bfe_u32 v18, v51, s3, 1
	; wave barrier
	v_add_u32_e32 v100, 16, v0
	ds_read_b32 v99, v0 offset:16
	v_lshl_add_u64 v[0:1], v[18:19], 0, -1
	v_cmp_ne_u32_e32 vcc, 0, v18
	v_lshrrev_b32_e32 v2, s3, v51
	s_nop 0
	v_xor_b32_e32 v1, vcc_hi, v1
	v_xor_b32_e32 v0, vcc_lo, v0
	v_and_b32_e32 v3, exec_hi, v1
	v_and_b32_e32 v18, exec_lo, v0
	v_lshlrev_b32_e32 v1, 30, v2
	v_mov_b32_e32 v0, v19
	v_cmp_gt_i64_e32 vcc, 0, v[0:1]
	v_not_b32_e32 v0, v1
	v_ashrrev_i32_e32 v0, 31, v0
	v_xor_b32_e32 v1, vcc_hi, v0
	v_xor_b32_e32 v0, vcc_lo, v0
	v_and_b32_e32 v3, v3, v1
	v_and_b32_e32 v18, v18, v0
	v_lshlrev_b32_e32 v1, 29, v2
	v_mov_b32_e32 v0, v19
	v_cmp_gt_i64_e32 vcc, 0, v[0:1]
	v_not_b32_e32 v0, v1
	v_ashrrev_i32_e32 v0, 31, v0
	v_xor_b32_e32 v1, vcc_hi, v0
	v_xor_b32_e32 v0, vcc_lo, v0
	v_and_b32_e32 v3, v3, v1
	v_and_b32_e32 v18, v18, v0
	;; [unrolled: 9-line block ×7, first 2 shown]
	v_mbcnt_lo_u32_b32 v2, v0, 0
	v_mbcnt_hi_u32_b32 v103, v1, v2
	v_cmp_eq_u32_e32 vcc, 0, v103
	v_cmp_ne_u64_e64 s[34:35], 0, v[0:1]
	s_and_b64 s[40:41], s[34:35], vcc
	; wave barrier
	s_and_saveexec_b64 s[34:35], s[40:41]
	s_cbranch_execz .LBB35_38
; %bb.37:                               ;   in Loop: Header=BB35_6 Depth=2
	v_bcnt_u32_b32 v0, v0, 0
	v_bcnt_u32_b32 v0, v1, v0
	s_waitcnt lgkmcnt(0)
	v_add_u32_e32 v0, v99, v0
	ds_write_b32 v100, v0
.LBB35_38:                              ;   in Loop: Header=BB35_6 Depth=2
	s_or_b64 exec, exec, s[34:35]
	; wave barrier
	s_waitcnt lgkmcnt(0)
	s_barrier
	ds_read2_b64 v[0:3], v17 offset0:2 offset1:3
	s_waitcnt lgkmcnt(0)
	v_add_u32_e32 v18, v1, v0
	v_add3_u32 v3, v18, v2, v3
	s_nop 1
	v_mov_b32_dpp v18, v3 row_shr:1 row_mask:0xf bank_mask:0xf
	v_cndmask_b32_e64 v18, v18, 0, s[14:15]
	v_add_u32_e32 v3, v18, v3
	s_nop 1
	v_mov_b32_dpp v18, v3 row_shr:2 row_mask:0xf bank_mask:0xf
	v_cndmask_b32_e64 v18, 0, v18, s[16:17]
	v_add_u32_e32 v3, v3, v18
	;; [unrolled: 4-line block ×4, first 2 shown]
	s_nop 1
	v_mov_b32_dpp v18, v3 row_bcast:15 row_mask:0xf bank_mask:0xf
	v_cndmask_b32_e64 v18, v18, 0, s[22:23]
	v_add_u32_e32 v3, v3, v18
	s_nop 1
	v_mov_b32_dpp v18, v3 row_bcast:31 row_mask:0xf bank_mask:0xf
	v_cndmask_b32_e64 v18, 0, v18, s[30:31]
	v_add_u32_e32 v3, v3, v18
	s_and_saveexec_b64 s[34:35], s[28:29]
	s_cbranch_execz .LBB35_40
; %bb.39:                               ;   in Loop: Header=BB35_6 Depth=2
	ds_write_b32 v26, v3
.LBB35_40:                              ;   in Loop: Header=BB35_6 Depth=2
	s_or_b64 exec, exec, s[34:35]
	s_waitcnt lgkmcnt(0)
	s_barrier
	s_and_saveexec_b64 s[34:35], s[4:5]
	s_cbranch_execz .LBB35_42
; %bb.41:                               ;   in Loop: Header=BB35_6 Depth=2
	ds_read_b32 v18, v27
	s_waitcnt lgkmcnt(0)
	s_nop 0
	v_mov_b32_dpp v101, v18 row_shr:1 row_mask:0xf bank_mask:0xf
	v_cndmask_b32_e64 v101, v101, 0, s[24:25]
	v_add_u32_e32 v18, v101, v18
	s_nop 1
	v_mov_b32_dpp v101, v18 row_shr:2 row_mask:0xf bank_mask:0xf
	v_cndmask_b32_e64 v101, 0, v101, s[26:27]
	v_add_u32_e32 v18, v18, v101
	ds_write_b32 v27, v18
.LBB35_42:                              ;   in Loop: Header=BB35_6 Depth=2
	s_or_b64 exec, exec, s[34:35]
	v_mov_b32_e32 v18, 0
	s_waitcnt lgkmcnt(0)
	s_barrier
	s_and_saveexec_b64 s[34:35], s[6:7]
	s_cbranch_execz .LBB35_44
; %bb.43:                               ;   in Loop: Header=BB35_6 Depth=2
	ds_read_b32 v18, v45
.LBB35_44:                              ;   in Loop: Header=BB35_6 Depth=2
	s_or_b64 exec, exec, s[34:35]
	s_waitcnt lgkmcnt(0)
	v_add_u32_e32 v3, v18, v3
	ds_bpermute_b32 v3, v44, v3
	s_cmp_gt_u32 s3, 23
	s_waitcnt lgkmcnt(0)
	v_cndmask_b32_e64 v3, v3, v18, s[8:9]
	v_cndmask_b32_e64 v104, v3, 0, s[10:11]
	v_add_u32_e32 v105, v104, v0
	v_add_u32_e32 v0, v105, v1
	;; [unrolled: 1-line block ×3, first 2 shown]
	ds_write2_b64 v17, v[104:105], v[0:1] offset0:2 offset1:3
	s_waitcnt lgkmcnt(0)
	s_barrier
	ds_read_b32 v0, v4
	ds_read_b32 v1, v7
	;; [unrolled: 1-line block ×8, first 2 shown]
	s_waitcnt lgkmcnt(7)
	v_add_u32_e32 v102, v0, v5
	s_waitcnt lgkmcnt(6)
	v_add3_u32 v101, v8, v6, v1
	s_waitcnt lgkmcnt(5)
	v_add3_u32 v76, v11, v9, v2
	;; [unrolled: 2-line block ×5, first 2 shown]
	ds_read_b32 v0, v79
	ds_read_b32 v1, v82
	;; [unrolled: 1-line block ×8, first 2 shown]
	s_waitcnt lgkmcnt(9)
	v_add3_u32 v67, v74, v72, v10
	s_waitcnt lgkmcnt(8)
	v_add3_u32 v18, v77, v75, v13
	;; [unrolled: 2-line block ×10, first 2 shown]
	s_cbranch_scc0 .LBB35_5
; %bb.45:                               ;   in Loop: Header=BB35_2 Depth=1
                                        ; implicit-def: $sgpr3
                                        ; implicit-def: $vgpr0
                                        ; implicit-def: $vgpr2
                                        ; implicit-def: $vgpr4
                                        ; implicit-def: $vgpr6
                                        ; implicit-def: $vgpr8
                                        ; implicit-def: $vgpr10
                                        ; implicit-def: $vgpr12
                                        ; implicit-def: $vgpr14
.LBB35_46:                              ;   in Loop: Header=BB35_2 Depth=1
	v_lshlrev_b32_e32 v0, 2, v102
	s_barrier
	ds_write_b32 v0, v66
	v_lshlrev_b32_e32 v0, 2, v101
	ds_write_b32 v0, v65
	v_lshlrev_b32_e32 v0, 2, v76
	;; [unrolled: 2-line block ×15, first 2 shown]
	ds_write_b32 v0, v51
	s_waitcnt lgkmcnt(0)
	s_barrier
	ds_read2_b64 v[0:3], v46 offset1:1
	ds_read2_b64 v[4:7], v46 offset0:2 offset1:3
	ds_read2_b64 v[8:11], v46 offset0:4 offset1:5
	ds_read2_b64 v[12:15], v46 offset0:6 offset1:7
	s_waitcnt lgkmcnt(0)
	s_barrier
	s_and_saveexec_b64 s[34:35], s[0:1]
	s_cbranch_execz .LBB35_48
; %bb.47:                               ;   in Loop: Header=BB35_2 Depth=1
	ds_write2st64_b32 v47, v50, v50 offset0:8 offset1:12
.LBB35_48:                              ;   in Loop: Header=BB35_2 Depth=1
	s_or_b64 exec, exec, s[34:35]
	v_xor_b32_e32 v51, 0x80000000, v14
	v_xor_b32_e32 v18, 0x80000000, v15
	v_cmp_ne_u32_e32 vcc, v14, v15
	v_lshlrev_b32_e32 v51, 2, v51
	s_waitcnt lgkmcnt(0)
	s_barrier
	ds_write_b32 v27, v18
	s_and_saveexec_b64 s[34:35], vcc
	s_cbranch_execz .LBB35_50
; %bb.49:                               ;   in Loop: Header=BB35_2 Depth=1
	v_lshlrev_b32_e32 v18, 2, v18
	ds_write_b32 v18, v42 offset:2048
	ds_write_b32 v51, v42 offset:3072
.LBB35_50:                              ;   in Loop: Header=BB35_2 Depth=1
	s_or_b64 exec, exec, s[34:35]
	v_xor_b32_e32 v18, 0x80000000, v13
	v_cmp_ne_u32_e32 vcc, v13, v14
	v_lshlrev_b32_e32 v18, 2, v18
	s_and_saveexec_b64 s[34:35], vcc
	s_cbranch_execz .LBB35_52
; %bb.51:                               ;   in Loop: Header=BB35_2 Depth=1
	ds_write_b32 v51, v41 offset:2048
	ds_write_b32 v18, v41 offset:3072
.LBB35_52:                              ;   in Loop: Header=BB35_2 Depth=1
	s_or_b64 exec, exec, s[34:35]
	v_xor_b32_e32 v51, 0x80000000, v12
	v_cmp_ne_u32_e32 vcc, v12, v13
	v_lshlrev_b32_e32 v51, 2, v51
	s_and_saveexec_b64 s[34:35], vcc
	s_cbranch_execz .LBB35_54
; %bb.53:                               ;   in Loop: Header=BB35_2 Depth=1
	ds_write_b32 v18, v40 offset:2048
	ds_write_b32 v51, v40 offset:3072
.LBB35_54:                              ;   in Loop: Header=BB35_2 Depth=1
	;; [unrolled: 10-line block ×14, first 2 shown]
	s_or_b64 exec, exec, s[34:35]
	s_waitcnt lgkmcnt(0)
	s_barrier
	s_and_saveexec_b64 s[34:35], s[12:13]
	s_cbranch_execz .LBB35_81
; %bb.79:                               ;   in Loop: Header=BB35_2 Depth=1
	ds_read_b32 v52, v48
	s_waitcnt lgkmcnt(0)
	v_cmp_ne_u32_e32 vcc, v52, v51
	s_and_b64 exec, exec, vcc
	s_cbranch_execz .LBB35_81
; %bb.80:                               ;   in Loop: Header=BB35_2 Depth=1
	ds_write_b32 v18, v17 offset:2048
	ds_read_b32 v51, v48
	s_waitcnt lgkmcnt(0)
	v_lshlrev_b32_e32 v51, 2, v51
	ds_write_b32 v51, v17 offset:3072
.LBB35_81:                              ;   in Loop: Header=BB35_2 Depth=1
	s_or_b64 exec, exec, s[34:35]
	s_waitcnt lgkmcnt(0)
	s_barrier
	s_and_saveexec_b64 s[34:35], s[10:11]
	s_cbranch_execz .LBB35_83
; %bb.82:                               ;   in Loop: Header=BB35_2 Depth=1
	ds_write_b32 v18, v19 offset:2048
.LBB35_83:                              ;   in Loop: Header=BB35_2 Depth=1
	s_or_b64 exec, exec, s[34:35]
	s_waitcnt lgkmcnt(0)
	s_barrier
	s_and_saveexec_b64 s[34:35], s[0:1]
	s_cbranch_execz .LBB35_1
; %bb.84:                               ;   in Loop: Header=BB35_2 Depth=1
	ds_read2st64_b32 v[52:53], v47 offset0:8 offset1:12
	ds_read_b32 v18, v24
	s_waitcnt lgkmcnt(1)
	v_sub_u32_e32 v51, v53, v52
	s_waitcnt lgkmcnt(0)
	v_add_u32_e32 v18, v51, v18
	ds_write_b32 v24, v18
	s_branch .LBB35_1
.LBB35_85:
	s_and_saveexec_b64 s[4:5], s[0:1]
	s_cbranch_execz .LBB35_87
; %bb.86:
	ds_read_b32 v4, v24
	v_mov_b32_e32 v0, s38
	v_mov_b32_e32 v1, s39
	v_lshl_or_b32 v2, s2, 8, v16
	v_mov_b32_e32 v3, 0
	v_lshl_add_u64 v[0:1], v[2:3], 2, v[0:1]
	s_waitcnt lgkmcnt(0)
	global_store_dword v[0:1], v4, off
.LBB35_87:
	s_endpgm
	.section	.rodata,"a",@progbits
	.p2align	6, 0x0
	.amdhsa_kernel _Z6kernelI9histogramILN6hipcub23BlockHistogramAlgorithmE1EEiLj256ELj16ELj256ELj100EEvPKT0_PS4_
		.amdhsa_group_segment_fixed_size 17408
		.amdhsa_private_segment_fixed_size 0
		.amdhsa_kernarg_size 272
		.amdhsa_user_sgpr_count 2
		.amdhsa_user_sgpr_dispatch_ptr 0
		.amdhsa_user_sgpr_queue_ptr 0
		.amdhsa_user_sgpr_kernarg_segment_ptr 1
		.amdhsa_user_sgpr_dispatch_id 0
		.amdhsa_user_sgpr_kernarg_preload_length 0
		.amdhsa_user_sgpr_kernarg_preload_offset 0
		.amdhsa_user_sgpr_private_segment_size 0
		.amdhsa_uses_dynamic_stack 0
		.amdhsa_enable_private_segment 0
		.amdhsa_system_sgpr_workgroup_id_x 1
		.amdhsa_system_sgpr_workgroup_id_y 0
		.amdhsa_system_sgpr_workgroup_id_z 0
		.amdhsa_system_sgpr_workgroup_info 0
		.amdhsa_system_vgpr_workitem_id 2
		.amdhsa_next_free_vgpr 106
		.amdhsa_next_free_sgpr 42
		.amdhsa_accum_offset 108
		.amdhsa_reserve_vcc 1
		.amdhsa_float_round_mode_32 0
		.amdhsa_float_round_mode_16_64 0
		.amdhsa_float_denorm_mode_32 3
		.amdhsa_float_denorm_mode_16_64 3
		.amdhsa_dx10_clamp 1
		.amdhsa_ieee_mode 1
		.amdhsa_fp16_overflow 0
		.amdhsa_tg_split 0
		.amdhsa_exception_fp_ieee_invalid_op 0
		.amdhsa_exception_fp_denorm_src 0
		.amdhsa_exception_fp_ieee_div_zero 0
		.amdhsa_exception_fp_ieee_overflow 0
		.amdhsa_exception_fp_ieee_underflow 0
		.amdhsa_exception_fp_ieee_inexact 0
		.amdhsa_exception_int_div_zero 0
	.end_amdhsa_kernel
	.section	.text._Z6kernelI9histogramILN6hipcub23BlockHistogramAlgorithmE1EEiLj256ELj16ELj256ELj100EEvPKT0_PS4_,"axG",@progbits,_Z6kernelI9histogramILN6hipcub23BlockHistogramAlgorithmE1EEiLj256ELj16ELj256ELj100EEvPKT0_PS4_,comdat
.Lfunc_end35:
	.size	_Z6kernelI9histogramILN6hipcub23BlockHistogramAlgorithmE1EEiLj256ELj16ELj256ELj100EEvPKT0_PS4_, .Lfunc_end35-_Z6kernelI9histogramILN6hipcub23BlockHistogramAlgorithmE1EEiLj256ELj16ELj256ELj100EEvPKT0_PS4_
                                        ; -- End function
	.section	.AMDGPU.csdata,"",@progbits
; Kernel info:
; codeLenInByte = 9504
; NumSgprs: 48
; NumVgprs: 106
; NumAgprs: 0
; TotalNumVgprs: 106
; ScratchSize: 0
; MemoryBound: 0
; FloatMode: 240
; IeeeMode: 1
; LDSByteSize: 17408 bytes/workgroup (compile time only)
; SGPRBlocks: 5
; VGPRBlocks: 13
; NumSGPRsForWavesPerEU: 48
; NumVGPRsForWavesPerEU: 106
; AccumOffset: 108
; Occupancy: 3
; WaveLimiterHint : 0
; COMPUTE_PGM_RSRC2:SCRATCH_EN: 0
; COMPUTE_PGM_RSRC2:USER_SGPR: 2
; COMPUTE_PGM_RSRC2:TRAP_HANDLER: 0
; COMPUTE_PGM_RSRC2:TGID_X_EN: 1
; COMPUTE_PGM_RSRC2:TGID_Y_EN: 0
; COMPUTE_PGM_RSRC2:TGID_Z_EN: 0
; COMPUTE_PGM_RSRC2:TIDIG_COMP_CNT: 2
; COMPUTE_PGM_RSRC3_GFX90A:ACCUM_OFFSET: 26
; COMPUTE_PGM_RSRC3_GFX90A:TG_SPLIT: 0
	.section	.text._Z6kernelI9histogramILN6hipcub23BlockHistogramAlgorithmE1EEiLj320ELj1ELj320ELj100EEvPKT0_PS4_,"axG",@progbits,_Z6kernelI9histogramILN6hipcub23BlockHistogramAlgorithmE1EEiLj320ELj1ELj320ELj100EEvPKT0_PS4_,comdat
	.protected	_Z6kernelI9histogramILN6hipcub23BlockHistogramAlgorithmE1EEiLj320ELj1ELj320ELj100EEvPKT0_PS4_ ; -- Begin function _Z6kernelI9histogramILN6hipcub23BlockHistogramAlgorithmE1EEiLj320ELj1ELj320ELj100EEvPKT0_PS4_
	.globl	_Z6kernelI9histogramILN6hipcub23BlockHistogramAlgorithmE1EEiLj320ELj1ELj320ELj100EEvPKT0_PS4_
	.p2align	8
	.type	_Z6kernelI9histogramILN6hipcub23BlockHistogramAlgorithmE1EEiLj320ELj1ELj320ELj100EEvPKT0_PS4_,@function
_Z6kernelI9histogramILN6hipcub23BlockHistogramAlgorithmE1EEiLj320ELj1ELj320ELj100EEvPKT0_PS4_: ; @_Z6kernelI9histogramILN6hipcub23BlockHistogramAlgorithmE1EEiLj320ELj1ELj320ELj100EEvPKT0_PS4_
; %bb.0:
	s_load_dwordx4 s[36:39], s[0:1], 0x0
	s_load_dword s30, s[0:1], 0x1c
	s_mulk_i32 s2, 0x140
	v_and_b32_e32 v4, 0x3ff, v0
	v_mov_b32_e32 v1, 0
	s_waitcnt lgkmcnt(0)
	v_mov_b32_e32 v6, s36
	v_mov_b32_e32 v7, s37
	v_add_u32_e32 v2, s2, v4
	v_mov_b32_e32 v3, v1
	v_lshl_add_u64 v[6:7], v[2:3], 2, v[6:7]
	global_load_dword v8, v[6:7], off
	v_mbcnt_lo_u32_b32 v6, -1, 0
	v_mbcnt_hi_u32_b32 v6, -1, v6
	v_mov_b32_e32 v7, 0x1420
	v_and_b32_e32 v21, 0x1c0, v4
	v_add_u32_e32 v22, -1, v6
	v_and_b32_e32 v23, 64, v6
	s_movk_i32 s0, 0x140
	v_bfe_u32 v9, v0, 10, 10
	v_bfe_u32 v0, v0, 20, 10
	v_lshl_add_u32 v17, v4, 2, v7
	v_min_u32_e32 v7, 0x100, v21
	v_cmp_lt_i32_e64 s[22:23], v22, v23
	s_lshr_b32 s31, s30, 16
	v_mov_b32_e32 v5, 0x140
	v_cmp_gt_u32_e32 vcc, s0, v4
	v_lshlrev_b32_e32 v16, 4, v4
	v_and_b32_e32 v19, 15, v6
	v_and_b32_e32 v20, 16, v6
	v_cmp_lt_u32_e64 s[0:1], 31, v6
	v_cmp_eq_u32_e64 s[6:7], 0, v6
	v_lshrrev_b32_e32 v24, 4, v4
	v_and_b32_e32 v25, 7, v6
	v_cndmask_b32_e64 v22, v22, v6, s[22:23]
	v_add_lshl_u32 v21, v6, v21, 2
	v_or_b32_e32 v6, 63, v7
	s_and_b32 s30, s30, 0xffff
	v_mad_u32_u24 v0, v0, s31, v9
	v_cmp_eq_u32_e64 s[12:13], 0, v19
	v_cmp_lt_u32_e64 s[14:15], 1, v19
	v_cmp_lt_u32_e64 s[16:17], 3, v19
	v_cmp_lt_u32_e64 s[18:19], 7, v19
	v_cmp_eq_u32_e64 s[20:21], 0, v20
	v_and_b32_e32 v19, 28, v24
	v_mad_i32_i24 v20, v4, -12, v16
	v_cmp_eq_u32_e64 s[28:29], v6, v4
	v_mad_u64_u32 v[6:7], s[30:31], v0, s30, v[4:5]
	s_movk_i32 s33, 0x64
	v_mov_b32_e32 v10, 30
	v_mov_b32_e32 v11, 29
	;; [unrolled: 1-line block ×6, first 2 shown]
	v_cmp_gt_u32_e64 s[2:3], 5, v4
	v_cmp_lt_u32_e64 s[4:5], 63, v4
	v_cmp_eq_u32_e64 s[8:9], 0, v4
	v_cmp_ne_u32_e64 s[10:11], 0, v4
	v_add_u32_e32 v18, 20, v16
	v_cmp_eq_u32_e64 s[22:23], 0, v25
	v_cmp_lt_u32_e64 s[24:25], 1, v25
	v_cmp_lt_u32_e64 s[26:27], 3, v25
	v_lshlrev_b32_e32 v22, 2, v22
	v_add_u32_e32 v23, -4, v19
	v_add_u32_e32 v24, -4, v20
	v_lshrrev_b32_e32 v25, 6, v6
	v_mov_b32_e32 v26, 24
	s_waitcnt vmcnt(0)
	v_xor_b32_e32 v27, 0x80000000, v8
	s_branch .LBB36_2
.LBB36_1:                               ;   in Loop: Header=BB36_2 Depth=1
	s_or_b64 exec, exec, s[30:31]
	s_add_i32 s33, s33, -1
	s_cmp_lg_u32 s33, 0
	s_cbranch_scc0 .LBB36_45
.LBB36_2:                               ; =>This Inner Loop Header: Depth=1
	s_and_saveexec_b64 s[30:31], vcc
	s_cbranch_execz .LBB36_4
; %bb.3:                                ;   in Loop: Header=BB36_2 Depth=1
	ds_write_b32 v17, v1
.LBB36_4:                               ;   in Loop: Header=BB36_2 Depth=1
	s_or_b64 exec, exec, s[30:31]
	v_and_b32_e32 v0, 0xff, v27
	v_mad_u32_u24 v0, v0, 5, v25
	v_lshl_add_u32 v28, v0, 2, 20
	v_and_b32_e32 v0, 1, v27
	v_lshl_add_u64 v[6:7], v[0:1], 0, -1
	v_cmp_ne_u32_e64 s[30:31], 0, v0
	s_waitcnt lgkmcnt(0)
	s_barrier
	v_xor_b32_e32 v6, s30, v6
	v_xor_b32_e32 v0, s31, v7
	v_and_b32_e32 v8, exec_lo, v6
	v_lshlrev_b32_e32 v7, 30, v27
	v_mov_b32_e32 v6, v1
	v_cmp_gt_i64_e64 s[30:31], 0, v[6:7]
	v_not_b32_e32 v6, v7
	v_ashrrev_i32_e32 v6, 31, v6
	v_and_b32_e32 v0, exec_hi, v0
	v_xor_b32_e32 v7, s31, v6
	v_xor_b32_e32 v6, s30, v6
	v_and_b32_e32 v0, v0, v7
	v_and_b32_e32 v8, v8, v6
	v_lshlrev_b32_e32 v7, 29, v27
	v_mov_b32_e32 v6, v1
	v_cmp_gt_i64_e64 s[30:31], 0, v[6:7]
	v_not_b32_e32 v6, v7
	v_ashrrev_i32_e32 v6, 31, v6
	v_xor_b32_e32 v7, s31, v6
	v_xor_b32_e32 v6, s30, v6
	v_and_b32_e32 v0, v0, v7
	v_and_b32_e32 v8, v8, v6
	v_lshlrev_b32_e32 v7, 28, v27
	v_mov_b32_e32 v6, v1
	v_cmp_gt_i64_e64 s[30:31], 0, v[6:7]
	v_not_b32_e32 v6, v7
	v_ashrrev_i32_e32 v6, 31, v6
	;; [unrolled: 9-line block ×6, first 2 shown]
	v_xor_b32_e32 v7, s31, v6
	v_xor_b32_e32 v6, s30, v6
	v_and_b32_e32 v6, v8, v6
	v_and_b32_e32 v7, v0, v7
	v_mbcnt_lo_u32_b32 v0, v6, 0
	v_mbcnt_hi_u32_b32 v0, v7, v0
	v_cmp_eq_u32_e64 s[30:31], 0, v0
	v_cmp_ne_u64_e64 s[34:35], 0, v[6:7]
	s_and_b64 s[34:35], s[34:35], s[30:31]
	ds_write2_b32 v16, v1, v1 offset0:5 offset1:6
	ds_write2_b32 v18, v1, v1 offset0:2 offset1:3
	s_waitcnt lgkmcnt(0)
	s_barrier
	s_waitcnt lgkmcnt(0)
	; wave barrier
	s_and_saveexec_b64 s[30:31], s[34:35]
	s_cbranch_execz .LBB36_6
; %bb.5:                                ;   in Loop: Header=BB36_2 Depth=1
	v_bcnt_u32_b32 v6, v6, 0
	v_bcnt_u32_b32 v6, v7, v6
	ds_write_b32 v28, v6
.LBB36_6:                               ;   in Loop: Header=BB36_2 Depth=1
	s_or_b64 exec, exec, s[30:31]
	; wave barrier
	s_waitcnt lgkmcnt(0)
	s_barrier
	ds_read2_b32 v[8:9], v16 offset0:5 offset1:6
	ds_read2_b32 v[6:7], v18 offset0:2 offset1:3
	s_waitcnt lgkmcnt(1)
	v_add_u32_e32 v29, v9, v8
	s_waitcnt lgkmcnt(0)
	v_add3_u32 v7, v29, v6, v7
	s_nop 1
	v_mov_b32_dpp v29, v7 row_shr:1 row_mask:0xf bank_mask:0xf
	v_cndmask_b32_e64 v29, v29, 0, s[12:13]
	v_add_u32_e32 v7, v29, v7
	s_nop 1
	v_mov_b32_dpp v29, v7 row_shr:2 row_mask:0xf bank_mask:0xf
	v_cndmask_b32_e64 v29, 0, v29, s[14:15]
	v_add_u32_e32 v7, v7, v29
	;; [unrolled: 4-line block ×4, first 2 shown]
	s_nop 1
	v_mov_b32_dpp v29, v7 row_bcast:15 row_mask:0xf bank_mask:0xf
	v_cndmask_b32_e64 v29, v29, 0, s[20:21]
	v_add_u32_e32 v7, v7, v29
	s_nop 1
	v_mov_b32_dpp v29, v7 row_bcast:31 row_mask:0xf bank_mask:0xf
	v_cndmask_b32_e64 v29, 0, v29, s[0:1]
	v_add_u32_e32 v7, v7, v29
	s_and_saveexec_b64 s[30:31], s[28:29]
	s_cbranch_execz .LBB36_8
; %bb.7:                                ;   in Loop: Header=BB36_2 Depth=1
	ds_write_b32 v19, v7
.LBB36_8:                               ;   in Loop: Header=BB36_2 Depth=1
	s_or_b64 exec, exec, s[30:31]
	s_waitcnt lgkmcnt(0)
	s_barrier
	s_and_saveexec_b64 s[30:31], s[2:3]
	s_cbranch_execz .LBB36_10
; %bb.9:                                ;   in Loop: Header=BB36_2 Depth=1
	ds_read_b32 v29, v20
	s_waitcnt lgkmcnt(0)
	s_nop 0
	v_mov_b32_dpp v30, v29 row_shr:1 row_mask:0xf bank_mask:0xf
	v_cndmask_b32_e64 v30, v30, 0, s[22:23]
	v_add_u32_e32 v29, v30, v29
	s_nop 1
	v_mov_b32_dpp v30, v29 row_shr:2 row_mask:0xf bank_mask:0xf
	v_cndmask_b32_e64 v30, 0, v30, s[24:25]
	v_add_u32_e32 v29, v29, v30
	;; [unrolled: 4-line block ×3, first 2 shown]
	ds_write_b32 v20, v29
.LBB36_10:                              ;   in Loop: Header=BB36_2 Depth=1
	s_or_b64 exec, exec, s[30:31]
	v_mov_b32_e32 v29, 0
	s_waitcnt lgkmcnt(0)
	s_barrier
	s_and_saveexec_b64 s[30:31], s[4:5]
	s_cbranch_execz .LBB36_12
; %bb.11:                               ;   in Loop: Header=BB36_2 Depth=1
	ds_read_b32 v29, v23
.LBB36_12:                              ;   in Loop: Header=BB36_2 Depth=1
	s_or_b64 exec, exec, s[30:31]
	s_waitcnt lgkmcnt(0)
	v_add_u32_e32 v7, v29, v7
	ds_bpermute_b32 v7, v22, v7
	v_lshlrev_b32_e32 v0, 2, v0
	s_waitcnt lgkmcnt(0)
	v_cndmask_b32_e64 v7, v7, v29, s[6:7]
	v_cndmask_b32_e64 v7, v7, 0, s[8:9]
	v_add_u32_e32 v8, v7, v8
	v_add_u32_e32 v9, v8, v9
	;; [unrolled: 1-line block ×3, first 2 shown]
	ds_write2_b32 v16, v7, v8 offset0:5 offset1:6
	ds_write2_b32 v18, v9, v6 offset0:2 offset1:3
	s_waitcnt lgkmcnt(0)
	s_barrier
	ds_read_b32 v6, v28
	s_waitcnt lgkmcnt(0)
	s_barrier
	v_lshl_add_u32 v0, v6, 2, v0
	ds_write_b32 v0, v27
	s_waitcnt lgkmcnt(0)
	s_barrier
	ds_read_b32 v27, v21
	s_waitcnt lgkmcnt(0)
	s_barrier
	ds_write2_b32 v16, v1, v1 offset0:5 offset1:6
	ds_write2_b32 v18, v1, v1 offset0:2 offset1:3
	v_bfe_u32 v0, v27, 8, 8
	v_mad_u32_u24 v0, v0, 5, v25
	v_lshl_add_u32 v28, v0, 2, 20
	v_bfe_u32 v0, v27, 8, 1
	v_lshl_add_u64 v[6:7], v[0:1], 0, -1
	v_cmp_ne_u32_e64 s[30:31], 0, v0
	v_lshrrev_b32_e32 v8, 8, v27
	s_waitcnt lgkmcnt(0)
	v_xor_b32_e32 v6, s30, v6
	v_xor_b32_e32 v0, s31, v7
	v_and_b32_e32 v9, exec_lo, v6
	v_lshlrev_b32_e32 v7, 30, v8
	v_mov_b32_e32 v6, v1
	v_cmp_gt_i64_e64 s[30:31], 0, v[6:7]
	v_not_b32_e32 v6, v7
	v_ashrrev_i32_e32 v6, 31, v6
	v_and_b32_e32 v0, exec_hi, v0
	v_xor_b32_e32 v7, s31, v6
	v_xor_b32_e32 v6, s30, v6
	v_and_b32_e32 v0, v0, v7
	v_and_b32_e32 v9, v9, v6
	v_lshlrev_b32_e32 v7, 29, v8
	v_mov_b32_e32 v6, v1
	v_cmp_gt_i64_e64 s[30:31], 0, v[6:7]
	v_not_b32_e32 v6, v7
	v_ashrrev_i32_e32 v6, 31, v6
	v_xor_b32_e32 v7, s31, v6
	v_xor_b32_e32 v6, s30, v6
	v_and_b32_e32 v0, v0, v7
	v_and_b32_e32 v9, v9, v6
	v_lshlrev_b32_e32 v7, 28, v8
	v_mov_b32_e32 v6, v1
	v_cmp_gt_i64_e64 s[30:31], 0, v[6:7]
	v_not_b32_e32 v6, v7
	v_ashrrev_i32_e32 v6, 31, v6
	;; [unrolled: 9-line block ×6, first 2 shown]
	v_xor_b32_e32 v7, s31, v6
	v_xor_b32_e32 v6, s30, v6
	v_and_b32_e32 v6, v9, v6
	v_and_b32_e32 v7, v0, v7
	v_mbcnt_lo_u32_b32 v0, v6, 0
	v_mbcnt_hi_u32_b32 v0, v7, v0
	v_cmp_eq_u32_e64 s[30:31], 0, v0
	v_cmp_ne_u64_e64 s[34:35], 0, v[6:7]
	s_and_b64 s[34:35], s[34:35], s[30:31]
	s_barrier
	s_waitcnt lgkmcnt(0)
	; wave barrier
	s_and_saveexec_b64 s[30:31], s[34:35]
	s_cbranch_execz .LBB36_14
; %bb.13:                               ;   in Loop: Header=BB36_2 Depth=1
	v_bcnt_u32_b32 v6, v6, 0
	v_bcnt_u32_b32 v6, v7, v6
	ds_write_b32 v28, v6
.LBB36_14:                              ;   in Loop: Header=BB36_2 Depth=1
	s_or_b64 exec, exec, s[30:31]
	; wave barrier
	s_waitcnt lgkmcnt(0)
	s_barrier
	ds_read2_b32 v[8:9], v16 offset0:5 offset1:6
	ds_read2_b32 v[6:7], v18 offset0:2 offset1:3
	s_waitcnt lgkmcnt(1)
	v_add_u32_e32 v29, v9, v8
	s_waitcnt lgkmcnt(0)
	v_add3_u32 v7, v29, v6, v7
	s_nop 1
	v_mov_b32_dpp v29, v7 row_shr:1 row_mask:0xf bank_mask:0xf
	v_cndmask_b32_e64 v29, v29, 0, s[12:13]
	v_add_u32_e32 v7, v29, v7
	s_nop 1
	v_mov_b32_dpp v29, v7 row_shr:2 row_mask:0xf bank_mask:0xf
	v_cndmask_b32_e64 v29, 0, v29, s[14:15]
	v_add_u32_e32 v7, v7, v29
	;; [unrolled: 4-line block ×4, first 2 shown]
	s_nop 1
	v_mov_b32_dpp v29, v7 row_bcast:15 row_mask:0xf bank_mask:0xf
	v_cndmask_b32_e64 v29, v29, 0, s[20:21]
	v_add_u32_e32 v7, v7, v29
	s_nop 1
	v_mov_b32_dpp v29, v7 row_bcast:31 row_mask:0xf bank_mask:0xf
	v_cndmask_b32_e64 v29, 0, v29, s[0:1]
	v_add_u32_e32 v7, v7, v29
	s_and_saveexec_b64 s[30:31], s[28:29]
	s_cbranch_execz .LBB36_16
; %bb.15:                               ;   in Loop: Header=BB36_2 Depth=1
	ds_write_b32 v19, v7
.LBB36_16:                              ;   in Loop: Header=BB36_2 Depth=1
	s_or_b64 exec, exec, s[30:31]
	s_waitcnt lgkmcnt(0)
	s_barrier
	s_and_saveexec_b64 s[30:31], s[2:3]
	s_cbranch_execz .LBB36_18
; %bb.17:                               ;   in Loop: Header=BB36_2 Depth=1
	ds_read_b32 v29, v20
	s_waitcnt lgkmcnt(0)
	s_nop 0
	v_mov_b32_dpp v30, v29 row_shr:1 row_mask:0xf bank_mask:0xf
	v_cndmask_b32_e64 v30, v30, 0, s[22:23]
	v_add_u32_e32 v29, v30, v29
	s_nop 1
	v_mov_b32_dpp v30, v29 row_shr:2 row_mask:0xf bank_mask:0xf
	v_cndmask_b32_e64 v30, 0, v30, s[24:25]
	v_add_u32_e32 v29, v29, v30
	;; [unrolled: 4-line block ×3, first 2 shown]
	ds_write_b32 v20, v29
.LBB36_18:                              ;   in Loop: Header=BB36_2 Depth=1
	s_or_b64 exec, exec, s[30:31]
	v_mov_b32_e32 v29, 0
	s_waitcnt lgkmcnt(0)
	s_barrier
	s_and_saveexec_b64 s[30:31], s[4:5]
	s_cbranch_execz .LBB36_20
; %bb.19:                               ;   in Loop: Header=BB36_2 Depth=1
	ds_read_b32 v29, v23
.LBB36_20:                              ;   in Loop: Header=BB36_2 Depth=1
	s_or_b64 exec, exec, s[30:31]
	s_waitcnt lgkmcnt(0)
	v_add_u32_e32 v7, v29, v7
	ds_bpermute_b32 v7, v22, v7
	v_lshlrev_b32_e32 v0, 2, v0
	s_waitcnt lgkmcnt(0)
	v_cndmask_b32_e64 v7, v7, v29, s[6:7]
	v_cndmask_b32_e64 v7, v7, 0, s[8:9]
	v_add_u32_e32 v8, v7, v8
	v_add_u32_e32 v9, v8, v9
	;; [unrolled: 1-line block ×3, first 2 shown]
	ds_write2_b32 v16, v7, v8 offset0:5 offset1:6
	ds_write2_b32 v18, v9, v6 offset0:2 offset1:3
	s_waitcnt lgkmcnt(0)
	s_barrier
	ds_read_b32 v6, v28
	s_waitcnt lgkmcnt(0)
	s_barrier
	v_lshl_add_u32 v0, v6, 2, v0
	ds_write_b32 v0, v27
	s_waitcnt lgkmcnt(0)
	s_barrier
	ds_read_b32 v27, v21
	s_waitcnt lgkmcnt(0)
	s_barrier
	ds_write2_b32 v16, v1, v1 offset0:5 offset1:6
	ds_write2_b32 v18, v1, v1 offset0:2 offset1:3
	v_bfe_u32 v0, v27, 16, 8
	v_mad_u32_u24 v0, v0, 5, v25
	v_lshl_add_u32 v28, v0, 2, 20
	v_bfe_u32 v0, v27, 16, 1
	v_lshl_add_u64 v[6:7], v[0:1], 0, -1
	v_cmp_ne_u32_e64 s[30:31], 0, v0
	s_waitcnt lgkmcnt(0)
	s_barrier
	v_xor_b32_e32 v6, s30, v6
	v_xor_b32_e32 v0, s31, v7
	v_and_b32_e32 v8, exec_lo, v6
	v_lshlrev_b32_sdwa v7, v10, v27 dst_sel:DWORD dst_unused:UNUSED_PAD src0_sel:DWORD src1_sel:WORD_1
	v_mov_b32_e32 v6, v1
	v_cmp_gt_i64_e64 s[30:31], 0, v[6:7]
	v_not_b32_e32 v6, v7
	v_ashrrev_i32_e32 v6, 31, v6
	v_and_b32_e32 v0, exec_hi, v0
	v_xor_b32_e32 v7, s31, v6
	v_xor_b32_e32 v6, s30, v6
	v_and_b32_e32 v0, v0, v7
	v_and_b32_e32 v8, v8, v6
	v_lshlrev_b32_sdwa v7, v11, v27 dst_sel:DWORD dst_unused:UNUSED_PAD src0_sel:DWORD src1_sel:WORD_1
	v_mov_b32_e32 v6, v1
	v_cmp_gt_i64_e64 s[30:31], 0, v[6:7]
	v_not_b32_e32 v6, v7
	v_ashrrev_i32_e32 v6, 31, v6
	v_xor_b32_e32 v7, s31, v6
	v_xor_b32_e32 v6, s30, v6
	v_and_b32_e32 v0, v0, v7
	v_and_b32_e32 v8, v8, v6
	v_lshlrev_b32_sdwa v7, v12, v27 dst_sel:DWORD dst_unused:UNUSED_PAD src0_sel:DWORD src1_sel:WORD_1
	v_mov_b32_e32 v6, v1
	v_cmp_gt_i64_e64 s[30:31], 0, v[6:7]
	v_not_b32_e32 v6, v7
	v_ashrrev_i32_e32 v6, 31, v6
	;; [unrolled: 9-line block ×6, first 2 shown]
	v_xor_b32_e32 v7, s31, v6
	v_xor_b32_e32 v6, s30, v6
	v_and_b32_e32 v6, v8, v6
	v_and_b32_e32 v7, v0, v7
	v_mbcnt_lo_u32_b32 v0, v6, 0
	v_mbcnt_hi_u32_b32 v0, v7, v0
	v_cmp_eq_u32_e64 s[30:31], 0, v0
	v_cmp_ne_u64_e64 s[34:35], 0, v[6:7]
	s_and_b64 s[34:35], s[34:35], s[30:31]
	s_waitcnt lgkmcnt(0)
	; wave barrier
	s_and_saveexec_b64 s[30:31], s[34:35]
	s_cbranch_execz .LBB36_22
; %bb.21:                               ;   in Loop: Header=BB36_2 Depth=1
	v_bcnt_u32_b32 v6, v6, 0
	v_bcnt_u32_b32 v6, v7, v6
	ds_write_b32 v28, v6
.LBB36_22:                              ;   in Loop: Header=BB36_2 Depth=1
	s_or_b64 exec, exec, s[30:31]
	; wave barrier
	s_waitcnt lgkmcnt(0)
	s_barrier
	ds_read2_b32 v[8:9], v16 offset0:5 offset1:6
	ds_read2_b32 v[6:7], v18 offset0:2 offset1:3
	s_waitcnt lgkmcnt(1)
	v_add_u32_e32 v29, v9, v8
	s_waitcnt lgkmcnt(0)
	v_add3_u32 v7, v29, v6, v7
	s_nop 1
	v_mov_b32_dpp v29, v7 row_shr:1 row_mask:0xf bank_mask:0xf
	v_cndmask_b32_e64 v29, v29, 0, s[12:13]
	v_add_u32_e32 v7, v29, v7
	s_nop 1
	v_mov_b32_dpp v29, v7 row_shr:2 row_mask:0xf bank_mask:0xf
	v_cndmask_b32_e64 v29, 0, v29, s[14:15]
	v_add_u32_e32 v7, v7, v29
	;; [unrolled: 4-line block ×4, first 2 shown]
	s_nop 1
	v_mov_b32_dpp v29, v7 row_bcast:15 row_mask:0xf bank_mask:0xf
	v_cndmask_b32_e64 v29, v29, 0, s[20:21]
	v_add_u32_e32 v7, v7, v29
	s_nop 1
	v_mov_b32_dpp v29, v7 row_bcast:31 row_mask:0xf bank_mask:0xf
	v_cndmask_b32_e64 v29, 0, v29, s[0:1]
	v_add_u32_e32 v7, v7, v29
	s_and_saveexec_b64 s[30:31], s[28:29]
	s_cbranch_execz .LBB36_24
; %bb.23:                               ;   in Loop: Header=BB36_2 Depth=1
	ds_write_b32 v19, v7
.LBB36_24:                              ;   in Loop: Header=BB36_2 Depth=1
	s_or_b64 exec, exec, s[30:31]
	s_waitcnt lgkmcnt(0)
	s_barrier
	s_and_saveexec_b64 s[30:31], s[2:3]
	s_cbranch_execz .LBB36_26
; %bb.25:                               ;   in Loop: Header=BB36_2 Depth=1
	ds_read_b32 v29, v20
	s_waitcnt lgkmcnt(0)
	s_nop 0
	v_mov_b32_dpp v30, v29 row_shr:1 row_mask:0xf bank_mask:0xf
	v_cndmask_b32_e64 v30, v30, 0, s[22:23]
	v_add_u32_e32 v29, v30, v29
	s_nop 1
	v_mov_b32_dpp v30, v29 row_shr:2 row_mask:0xf bank_mask:0xf
	v_cndmask_b32_e64 v30, 0, v30, s[24:25]
	v_add_u32_e32 v29, v29, v30
	;; [unrolled: 4-line block ×3, first 2 shown]
	ds_write_b32 v20, v29
.LBB36_26:                              ;   in Loop: Header=BB36_2 Depth=1
	s_or_b64 exec, exec, s[30:31]
	v_mov_b32_e32 v29, 0
	s_waitcnt lgkmcnt(0)
	s_barrier
	s_and_saveexec_b64 s[30:31], s[4:5]
	s_cbranch_execz .LBB36_28
; %bb.27:                               ;   in Loop: Header=BB36_2 Depth=1
	ds_read_b32 v29, v23
.LBB36_28:                              ;   in Loop: Header=BB36_2 Depth=1
	s_or_b64 exec, exec, s[30:31]
	s_waitcnt lgkmcnt(0)
	v_add_u32_e32 v7, v29, v7
	ds_bpermute_b32 v7, v22, v7
	v_lshlrev_b32_e32 v0, 2, v0
	s_waitcnt lgkmcnt(0)
	v_cndmask_b32_e64 v7, v7, v29, s[6:7]
	v_cndmask_b32_e64 v7, v7, 0, s[8:9]
	v_add_u32_e32 v8, v7, v8
	v_add_u32_e32 v9, v8, v9
	;; [unrolled: 1-line block ×3, first 2 shown]
	ds_write2_b32 v16, v7, v8 offset0:5 offset1:6
	ds_write2_b32 v18, v9, v6 offset0:2 offset1:3
	s_waitcnt lgkmcnt(0)
	s_barrier
	ds_read_b32 v6, v28
	s_waitcnt lgkmcnt(0)
	s_barrier
	v_lshl_add_u32 v0, v6, 2, v0
	ds_write_b32 v0, v27
	s_waitcnt lgkmcnt(0)
	s_barrier
	ds_read_b32 v27, v21
	s_waitcnt lgkmcnt(0)
	s_barrier
	ds_write2_b32 v16, v1, v1 offset0:5 offset1:6
	ds_write2_b32 v18, v1, v1 offset0:2 offset1:3
	v_lshrrev_b32_e32 v8, 24, v27
	v_mad_u32_u24 v0, v8, 5, v25
	v_lshl_add_u32 v28, v0, 2, 20
	v_bfe_u32 v0, v27, 24, 1
	v_lshl_add_u64 v[6:7], v[0:1], 0, -1
	v_cmp_ne_u32_e64 s[30:31], 0, v0
	s_waitcnt lgkmcnt(0)
	s_barrier
	v_xor_b32_e32 v6, s30, v6
	v_xor_b32_e32 v0, s31, v7
	v_and_b32_e32 v9, exec_lo, v6
	v_lshlrev_b32_e32 v7, 30, v8
	v_mov_b32_e32 v6, v1
	v_cmp_gt_i64_e64 s[30:31], 0, v[6:7]
	v_not_b32_e32 v6, v7
	v_ashrrev_i32_e32 v6, 31, v6
	v_and_b32_e32 v0, exec_hi, v0
	v_xor_b32_e32 v7, s31, v6
	v_xor_b32_e32 v6, s30, v6
	v_and_b32_e32 v0, v0, v7
	v_and_b32_e32 v9, v9, v6
	v_lshlrev_b32_e32 v7, 29, v8
	v_mov_b32_e32 v6, v1
	v_cmp_gt_i64_e64 s[30:31], 0, v[6:7]
	v_not_b32_e32 v6, v7
	v_ashrrev_i32_e32 v6, 31, v6
	v_xor_b32_e32 v7, s31, v6
	v_xor_b32_e32 v6, s30, v6
	v_and_b32_e32 v0, v0, v7
	v_and_b32_e32 v9, v9, v6
	v_lshlrev_b32_e32 v7, 28, v8
	v_mov_b32_e32 v6, v1
	v_cmp_gt_i64_e64 s[30:31], 0, v[6:7]
	v_not_b32_e32 v6, v7
	v_ashrrev_i32_e32 v6, 31, v6
	v_xor_b32_e32 v7, s31, v6
	v_xor_b32_e32 v6, s30, v6
	v_and_b32_e32 v0, v0, v7
	v_and_b32_e32 v9, v9, v6
	v_lshlrev_b32_e32 v7, 27, v8
	v_mov_b32_e32 v6, v1
	v_cmp_gt_i64_e64 s[30:31], 0, v[6:7]
	v_not_b32_e32 v6, v7
	v_ashrrev_i32_e32 v6, 31, v6
	v_xor_b32_e32 v7, s31, v6
	v_xor_b32_e32 v6, s30, v6
	v_and_b32_e32 v0, v0, v7
	v_and_b32_e32 v9, v9, v6
	v_lshlrev_b32_e32 v7, 26, v8
	v_mov_b32_e32 v6, v1
	v_cmp_gt_i64_e64 s[30:31], 0, v[6:7]
	v_not_b32_e32 v6, v7
	v_ashrrev_i32_e32 v6, 31, v6
	v_xor_b32_e32 v7, s31, v6
	v_xor_b32_e32 v6, s30, v6
	v_and_b32_e32 v0, v0, v7
	v_and_b32_e32 v9, v9, v6
	v_lshlrev_b32_e32 v7, 25, v8
	v_mov_b32_e32 v6, v1
	v_cmp_gt_i64_e64 s[30:31], 0, v[6:7]
	v_not_b32_e32 v6, v7
	v_ashrrev_i32_e32 v6, 31, v6
	v_xor_b32_e32 v7, s31, v6
	v_xor_b32_e32 v6, s30, v6
	v_and_b32_e32 v0, v0, v7
	v_and_b32_e32 v8, v9, v6
	;; [unrolled: 1-line block ×3, first 2 shown]
	v_mov_b32_e32 v6, v1
	v_cmp_gt_i64_e64 s[30:31], 0, v[6:7]
	v_not_b32_e32 v6, v7
	v_ashrrev_i32_e32 v6, 31, v6
	v_xor_b32_e32 v7, s31, v6
	v_xor_b32_e32 v6, s30, v6
	v_and_b32_e32 v6, v8, v6
	v_and_b32_e32 v7, v0, v7
	v_mbcnt_lo_u32_b32 v0, v6, 0
	v_mbcnt_hi_u32_b32 v0, v7, v0
	v_cmp_eq_u32_e64 s[30:31], 0, v0
	v_cmp_ne_u64_e64 s[34:35], 0, v[6:7]
	s_and_b64 s[34:35], s[34:35], s[30:31]
	s_waitcnt lgkmcnt(0)
	; wave barrier
	s_and_saveexec_b64 s[30:31], s[34:35]
	s_cbranch_execz .LBB36_30
; %bb.29:                               ;   in Loop: Header=BB36_2 Depth=1
	v_bcnt_u32_b32 v6, v6, 0
	v_bcnt_u32_b32 v6, v7, v6
	ds_write_b32 v28, v6
.LBB36_30:                              ;   in Loop: Header=BB36_2 Depth=1
	s_or_b64 exec, exec, s[30:31]
	; wave barrier
	s_waitcnt lgkmcnt(0)
	s_barrier
	ds_read2_b32 v[8:9], v16 offset0:5 offset1:6
	ds_read2_b32 v[6:7], v18 offset0:2 offset1:3
	s_waitcnt lgkmcnt(1)
	v_add_u32_e32 v29, v9, v8
	s_waitcnt lgkmcnt(0)
	v_add3_u32 v7, v29, v6, v7
	s_nop 1
	v_mov_b32_dpp v29, v7 row_shr:1 row_mask:0xf bank_mask:0xf
	v_cndmask_b32_e64 v29, v29, 0, s[12:13]
	v_add_u32_e32 v7, v29, v7
	s_nop 1
	v_mov_b32_dpp v29, v7 row_shr:2 row_mask:0xf bank_mask:0xf
	v_cndmask_b32_e64 v29, 0, v29, s[14:15]
	v_add_u32_e32 v7, v7, v29
	s_nop 1
	v_mov_b32_dpp v29, v7 row_shr:4 row_mask:0xf bank_mask:0xf
	v_cndmask_b32_e64 v29, 0, v29, s[16:17]
	v_add_u32_e32 v7, v7, v29
	s_nop 1
	v_mov_b32_dpp v29, v7 row_shr:8 row_mask:0xf bank_mask:0xf
	v_cndmask_b32_e64 v29, 0, v29, s[18:19]
	v_add_u32_e32 v7, v7, v29
	s_nop 1
	v_mov_b32_dpp v29, v7 row_bcast:15 row_mask:0xf bank_mask:0xf
	v_cndmask_b32_e64 v29, v29, 0, s[20:21]
	v_add_u32_e32 v7, v7, v29
	s_nop 1
	v_mov_b32_dpp v29, v7 row_bcast:31 row_mask:0xf bank_mask:0xf
	v_cndmask_b32_e64 v29, 0, v29, s[0:1]
	v_add_u32_e32 v7, v7, v29
	s_and_saveexec_b64 s[30:31], s[28:29]
	s_cbranch_execz .LBB36_32
; %bb.31:                               ;   in Loop: Header=BB36_2 Depth=1
	ds_write_b32 v19, v7
.LBB36_32:                              ;   in Loop: Header=BB36_2 Depth=1
	s_or_b64 exec, exec, s[30:31]
	s_waitcnt lgkmcnt(0)
	s_barrier
	s_and_saveexec_b64 s[30:31], s[2:3]
	s_cbranch_execz .LBB36_34
; %bb.33:                               ;   in Loop: Header=BB36_2 Depth=1
	ds_read_b32 v29, v20
	s_waitcnt lgkmcnt(0)
	s_nop 0
	v_mov_b32_dpp v30, v29 row_shr:1 row_mask:0xf bank_mask:0xf
	v_cndmask_b32_e64 v30, v30, 0, s[22:23]
	v_add_u32_e32 v29, v30, v29
	s_nop 1
	v_mov_b32_dpp v30, v29 row_shr:2 row_mask:0xf bank_mask:0xf
	v_cndmask_b32_e64 v30, 0, v30, s[24:25]
	v_add_u32_e32 v29, v29, v30
	s_nop 1
	v_mov_b32_dpp v30, v29 row_shr:4 row_mask:0xf bank_mask:0xf
	v_cndmask_b32_e64 v30, 0, v30, s[26:27]
	v_add_u32_e32 v29, v29, v30
	ds_write_b32 v20, v29
.LBB36_34:                              ;   in Loop: Header=BB36_2 Depth=1
	s_or_b64 exec, exec, s[30:31]
	v_mov_b32_e32 v29, 0
	s_waitcnt lgkmcnt(0)
	s_barrier
	s_and_saveexec_b64 s[30:31], s[4:5]
	s_cbranch_execz .LBB36_36
; %bb.35:                               ;   in Loop: Header=BB36_2 Depth=1
	ds_read_b32 v29, v23
.LBB36_36:                              ;   in Loop: Header=BB36_2 Depth=1
	s_or_b64 exec, exec, s[30:31]
	s_waitcnt lgkmcnt(0)
	v_add_u32_e32 v7, v29, v7
	ds_bpermute_b32 v7, v22, v7
	v_lshlrev_b32_e32 v0, 2, v0
	s_waitcnt lgkmcnt(0)
	v_cndmask_b32_e64 v7, v7, v29, s[6:7]
	v_cndmask_b32_e64 v7, v7, 0, s[8:9]
	v_add_u32_e32 v8, v7, v8
	v_add_u32_e32 v9, v8, v9
	;; [unrolled: 1-line block ×3, first 2 shown]
	ds_write2_b32 v16, v7, v8 offset0:5 offset1:6
	ds_write2_b32 v18, v9, v6 offset0:2 offset1:3
	s_waitcnt lgkmcnt(0)
	s_barrier
	ds_read_b32 v6, v28
	s_waitcnt lgkmcnt(0)
	s_barrier
	v_lshl_add_u32 v0, v6, 2, v0
	ds_write_b32 v0, v27
	s_waitcnt lgkmcnt(0)
	s_barrier
	ds_read_b32 v27, v20
	s_waitcnt lgkmcnt(0)
	s_barrier
	s_and_saveexec_b64 s[30:31], vcc
	s_cbranch_execz .LBB36_38
; %bb.37:                               ;   in Loop: Header=BB36_2 Depth=1
	ds_write2st64_b32 v20, v5, v5 offset0:10 offset1:15
.LBB36_38:                              ;   in Loop: Header=BB36_2 Depth=1
	s_or_b64 exec, exec, s[30:31]
	v_xor_b32_e32 v0, 0x80000000, v27
	s_waitcnt lgkmcnt(0)
	s_barrier
	ds_write_b32 v20, v0
	s_waitcnt lgkmcnt(0)
	s_barrier
	s_and_saveexec_b64 s[34:35], s[10:11]
	s_cbranch_execz .LBB36_41
; %bb.39:                               ;   in Loop: Header=BB36_2 Depth=1
	ds_read_b32 v6, v24
	s_waitcnt lgkmcnt(0)
	v_cmp_ne_u32_e64 s[30:31], v6, v0
	s_and_b64 exec, exec, s[30:31]
	s_cbranch_execz .LBB36_41
; %bb.40:                               ;   in Loop: Header=BB36_2 Depth=1
	v_lshlrev_b32_e32 v6, 2, v0
	ds_write_b32 v6, v4 offset:2560
	ds_read_b32 v6, v24
	s_waitcnt lgkmcnt(0)
	v_lshlrev_b32_e32 v6, 2, v6
	ds_write_b32 v6, v4 offset:3840
.LBB36_41:                              ;   in Loop: Header=BB36_2 Depth=1
	s_or_b64 exec, exec, s[34:35]
	s_waitcnt lgkmcnt(0)
	s_barrier
	s_and_saveexec_b64 s[30:31], s[8:9]
	s_cbranch_execz .LBB36_43
; %bb.42:                               ;   in Loop: Header=BB36_2 Depth=1
	v_lshlrev_b32_e32 v0, 2, v0
	ds_write_b32 v0, v1 offset:2560
.LBB36_43:                              ;   in Loop: Header=BB36_2 Depth=1
	s_or_b64 exec, exec, s[30:31]
	s_waitcnt lgkmcnt(0)
	s_barrier
	s_and_saveexec_b64 s[30:31], vcc
	s_cbranch_execz .LBB36_1
; %bb.44:                               ;   in Loop: Header=BB36_2 Depth=1
	ds_read2st64_b32 v[6:7], v20 offset0:10 offset1:15
	ds_read_b32 v0, v17
	s_waitcnt lgkmcnt(1)
	v_sub_u32_e32 v6, v7, v6
	s_waitcnt lgkmcnt(0)
	v_add_u32_e32 v0, v6, v0
	ds_write_b32 v17, v0
	s_branch .LBB36_1
.LBB36_45:
	s_and_saveexec_b64 s[0:1], vcc
	s_cbranch_execz .LBB36_47
; %bb.46:
	ds_read_b32 v4, v17
	v_mov_b32_e32 v0, s38
	v_mov_b32_e32 v1, s39
	v_lshl_add_u64 v[0:1], v[2:3], 2, v[0:1]
	s_waitcnt lgkmcnt(0)
	global_store_dword v[0:1], v4, off
.LBB36_47:
	s_endpgm
	.section	.rodata,"a",@progbits
	.p2align	6, 0x0
	.amdhsa_kernel _Z6kernelI9histogramILN6hipcub23BlockHistogramAlgorithmE1EEiLj320ELj1ELj320ELj100EEvPKT0_PS4_
		.amdhsa_group_segment_fixed_size 6432
		.amdhsa_private_segment_fixed_size 0
		.amdhsa_kernarg_size 272
		.amdhsa_user_sgpr_count 2
		.amdhsa_user_sgpr_dispatch_ptr 0
		.amdhsa_user_sgpr_queue_ptr 0
		.amdhsa_user_sgpr_kernarg_segment_ptr 1
		.amdhsa_user_sgpr_dispatch_id 0
		.amdhsa_user_sgpr_kernarg_preload_length 0
		.amdhsa_user_sgpr_kernarg_preload_offset 0
		.amdhsa_user_sgpr_private_segment_size 0
		.amdhsa_uses_dynamic_stack 0
		.amdhsa_enable_private_segment 0
		.amdhsa_system_sgpr_workgroup_id_x 1
		.amdhsa_system_sgpr_workgroup_id_y 0
		.amdhsa_system_sgpr_workgroup_id_z 0
		.amdhsa_system_sgpr_workgroup_info 0
		.amdhsa_system_vgpr_workitem_id 2
		.amdhsa_next_free_vgpr 31
		.amdhsa_next_free_sgpr 40
		.amdhsa_accum_offset 32
		.amdhsa_reserve_vcc 1
		.amdhsa_float_round_mode_32 0
		.amdhsa_float_round_mode_16_64 0
		.amdhsa_float_denorm_mode_32 3
		.amdhsa_float_denorm_mode_16_64 3
		.amdhsa_dx10_clamp 1
		.amdhsa_ieee_mode 1
		.amdhsa_fp16_overflow 0
		.amdhsa_tg_split 0
		.amdhsa_exception_fp_ieee_invalid_op 0
		.amdhsa_exception_fp_denorm_src 0
		.amdhsa_exception_fp_ieee_div_zero 0
		.amdhsa_exception_fp_ieee_overflow 0
		.amdhsa_exception_fp_ieee_underflow 0
		.amdhsa_exception_fp_ieee_inexact 0
		.amdhsa_exception_int_div_zero 0
	.end_amdhsa_kernel
	.section	.text._Z6kernelI9histogramILN6hipcub23BlockHistogramAlgorithmE1EEiLj320ELj1ELj320ELj100EEvPKT0_PS4_,"axG",@progbits,_Z6kernelI9histogramILN6hipcub23BlockHistogramAlgorithmE1EEiLj320ELj1ELj320ELj100EEvPKT0_PS4_,comdat
.Lfunc_end36:
	.size	_Z6kernelI9histogramILN6hipcub23BlockHistogramAlgorithmE1EEiLj320ELj1ELj320ELj100EEvPKT0_PS4_, .Lfunc_end36-_Z6kernelI9histogramILN6hipcub23BlockHistogramAlgorithmE1EEiLj320ELj1ELj320ELj100EEvPKT0_PS4_
                                        ; -- End function
	.section	.AMDGPU.csdata,"",@progbits
; Kernel info:
; codeLenInByte = 4484
; NumSgprs: 46
; NumVgprs: 31
; NumAgprs: 0
; TotalNumVgprs: 31
; ScratchSize: 0
; MemoryBound: 0
; FloatMode: 240
; IeeeMode: 1
; LDSByteSize: 6432 bytes/workgroup (compile time only)
; SGPRBlocks: 5
; VGPRBlocks: 3
; NumSGPRsForWavesPerEU: 46
; NumVGPRsForWavesPerEU: 31
; AccumOffset: 32
; Occupancy: 8
; WaveLimiterHint : 0
; COMPUTE_PGM_RSRC2:SCRATCH_EN: 0
; COMPUTE_PGM_RSRC2:USER_SGPR: 2
; COMPUTE_PGM_RSRC2:TRAP_HANDLER: 0
; COMPUTE_PGM_RSRC2:TGID_X_EN: 1
; COMPUTE_PGM_RSRC2:TGID_Y_EN: 0
; COMPUTE_PGM_RSRC2:TGID_Z_EN: 0
; COMPUTE_PGM_RSRC2:TIDIG_COMP_CNT: 2
; COMPUTE_PGM_RSRC3_GFX90A:ACCUM_OFFSET: 7
; COMPUTE_PGM_RSRC3_GFX90A:TG_SPLIT: 0
	.section	.text._Z6kernelI9histogramILN6hipcub23BlockHistogramAlgorithmE1EEiLj320ELj2ELj320ELj100EEvPKT0_PS4_,"axG",@progbits,_Z6kernelI9histogramILN6hipcub23BlockHistogramAlgorithmE1EEiLj320ELj2ELj320ELj100EEvPKT0_PS4_,comdat
	.protected	_Z6kernelI9histogramILN6hipcub23BlockHistogramAlgorithmE1EEiLj320ELj2ELj320ELj100EEvPKT0_PS4_ ; -- Begin function _Z6kernelI9histogramILN6hipcub23BlockHistogramAlgorithmE1EEiLj320ELj2ELj320ELj100EEvPKT0_PS4_
	.globl	_Z6kernelI9histogramILN6hipcub23BlockHistogramAlgorithmE1EEiLj320ELj2ELj320ELj100EEvPKT0_PS4_
	.p2align	8
	.type	_Z6kernelI9histogramILN6hipcub23BlockHistogramAlgorithmE1EEiLj320ELj2ELj320ELj100EEvPKT0_PS4_,@function
_Z6kernelI9histogramILN6hipcub23BlockHistogramAlgorithmE1EEiLj320ELj2ELj320ELj100EEvPKT0_PS4_: ; @_Z6kernelI9histogramILN6hipcub23BlockHistogramAlgorithmE1EEiLj320ELj2ELj320ELj100EEvPKT0_PS4_
; %bb.0:
	s_load_dwordx4 s[36:39], s[0:1], 0x0
	s_load_dword s4, s[0:1], 0x1c
	s_mulk_i32 s2, 0x140
	v_and_b32_e32 v18, 0x3ff, v0
	v_add_u32_e32 v2, s2, v18
	s_waitcnt lgkmcnt(0)
	v_mov_b32_e32 v6, s36
	v_mov_b32_e32 v7, s37
	v_lshlrev_b32_e32 v4, 1, v2
	v_mov_b32_e32 v5, 0
	v_lshl_add_u64 v[6:7], v[4:5], 2, v[6:7]
	global_load_dwordx2 v[6:7], v[6:7], off
	v_mbcnt_lo_u32_b32 v1, -1, 0
	v_mbcnt_hi_u32_b32 v4, -1, v1
	v_lshrrev_b32_e32 v1, 1, v4
	v_and_b32_e32 v12, 64, v4
	v_and_b32_e32 v3, 1, v4
	v_or_b32_e32 v1, v1, v12
	v_cmp_eq_u32_e64 s[2:3], 0, v3
	v_lshlrev_b32_e32 v3, 2, v1
	s_lshr_b32 s5, s4, 16
	v_bfe_u32 v1, v0, 10, 10
	v_bfe_u32 v0, v0, 20, 10
	s_and_b32 s4, s4, 0xffff
	v_mad_u32_u24 v0, v0, s5, v1
	v_mad_u64_u32 v[0:1], s[4:5], v0, s4, v[18:19]
	v_lshrrev_b32_e32 v11, 6, v0
	v_and_b32_e32 v0, 15, v4
	v_cmp_eq_u32_e64 s[4:5], 0, v0
	v_cmp_lt_u32_e64 s[6:7], 1, v0
	v_cmp_lt_u32_e64 s[8:9], 3, v0
	;; [unrolled: 1-line block ×3, first 2 shown]
	v_and_b32_e32 v0, 16, v4
	v_cmp_eq_u32_e64 s[12:13], 0, v0
	v_and_b32_e32 v0, 0x1c0, v18
	v_min_u32_e32 v0, 0x100, v0
	v_or_b32_e32 v0, 63, v0
	v_cmp_eq_u32_e64 s[16:17], v0, v18
	v_add_u32_e32 v0, -1, v4
	v_cmp_lt_i32_e32 vcc, v0, v12
	v_lshlrev_b32_e32 v9, 4, v18
	v_lshlrev_b32_e32 v17, 1, v18
	v_cndmask_b32_e32 v0, v0, v4, vcc
	v_lshlrev_b32_e32 v12, 2, v0
	v_lshrrev_b32_e32 v0, 4, v18
	v_and_b32_e32 v14, 28, v0
	v_and_b32_e32 v0, 7, v4
	s_movk_i32 s36, 0x380
	s_movk_i32 s0, 0x140
	v_lshlrev_b32_e32 v1, 2, v18
	v_mad_i32_i24 v15, v18, -12, v9
	v_cmp_eq_u32_e64 s[28:29], 0, v0
	v_cmp_lt_u32_e64 s[30:31], 1, v0
	v_cmp_lt_u32_e64 s[34:35], 3, v0
	v_and_or_b32 v0, v17, s36, v4
	v_cmp_gt_u32_e64 s[0:1], s0, v18
	s_mov_b32 s33, 0
	v_xor_b32_e32 v8, 0x80, v3
	v_add_u32_e32 v10, 20, v9
	v_cmp_lt_u32_e64 s[14:15], 31, v4
	v_cmp_gt_u32_e64 s[18:19], 5, v18
	v_cmp_lt_u32_e64 s[20:21], 63, v18
	v_cmp_eq_u32_e64 s[22:23], 0, v4
	v_cmp_eq_u32_e64 s[24:25], 0, v18
	v_cmp_ne_u32_e64 s[26:27], 0, v18
	v_add_u32_e32 v16, -4, v14
	v_lshlrev_b32_e32 v18, 2, v0
	v_add_u32_e32 v19, v15, v1
	v_or_b32_e32 v20, 1, v17
	v_add_u32_e32 v13, 0x1420, v1
	v_add_u32_e32 v21, -4, v15
	v_mov_b32_e32 v22, 0x280
	s_branch .LBB37_2
.LBB37_1:                               ;   in Loop: Header=BB37_2 Depth=1
	s_or_b64 exec, exec, s[36:37]
	s_add_i32 s33, s33, 1
	s_cmpk_lg_i32 s33, 0x64
	s_cbranch_scc0 .LBB37_29
.LBB37_2:                               ; =>This Loop Header: Depth=1
                                        ;     Child Loop BB37_6 Depth 2
	s_and_saveexec_b64 s[36:37], s[0:1]
	s_cbranch_execz .LBB37_4
; %bb.3:                                ;   in Loop: Header=BB37_2 Depth=1
	ds_write_b32 v13, v5
.LBB37_4:                               ;   in Loop: Header=BB37_2 Depth=1
	s_or_b64 exec, exec, s[36:37]
	s_waitcnt vmcnt(0)
	v_xor_b32_e32 v0, 0x80000000, v6
	v_xor_b32_e32 v1, 0x80000000, v7
	ds_bpermute_b32 v4, v3, v0
	ds_bpermute_b32 v6, v3, v1
	;; [unrolled: 1-line block ×4, first 2 shown]
	s_mov_b32 s40, 0
	s_waitcnt lgkmcnt(0)
	v_cndmask_b32_e64 v0, v6, v4, s[2:3]
	s_barrier
	v_cndmask_b32_e64 v1, v1, v7, s[2:3]
	s_barrier
	s_branch .LBB37_6
.LBB37_5:                               ;   in Loop: Header=BB37_6 Depth=2
	v_lshlrev_b32_e32 v0, 2, v6
	s_barrier
	ds_write_b32 v0, v24
	v_lshlrev_b32_e32 v0, 2, v4
	ds_write_b32 v0, v23
	s_waitcnt lgkmcnt(0)
	s_barrier
	ds_read2st64_b32 v[0:1], v18 offset1:1
	s_add_i32 s40, s40, 8
	s_waitcnt lgkmcnt(0)
	s_barrier
	s_cbranch_execz .LBB37_18
.LBB37_6:                               ;   Parent Loop BB37_2 Depth=1
                                        ; =>  This Inner Loop Header: Depth=2
	v_mov_b32_e32 v24, v0
	v_bfe_u32 v0, v24, s40, 8
	v_mad_u32_u24 v0, v0, 5, v11
	v_bfe_u32 v4, v24, s40, 1
	v_mov_b32_e32 v23, v1
	v_lshl_add_u32 v25, v0, 2, 20
	v_lshl_add_u64 v[0:1], v[4:5], 0, -1
	v_cmp_ne_u32_e32 vcc, 0, v4
	v_lshrrev_b32_e32 v6, s40, v24
	s_nop 0
	v_xor_b32_e32 v1, vcc_hi, v1
	v_xor_b32_e32 v0, vcc_lo, v0
	v_and_b32_e32 v4, exec_hi, v1
	v_and_b32_e32 v7, exec_lo, v0
	v_lshlrev_b32_e32 v1, 30, v6
	v_mov_b32_e32 v0, v5
	v_cmp_gt_i64_e32 vcc, 0, v[0:1]
	v_not_b32_e32 v0, v1
	v_ashrrev_i32_e32 v0, 31, v0
	v_xor_b32_e32 v1, vcc_hi, v0
	v_xor_b32_e32 v0, vcc_lo, v0
	v_and_b32_e32 v4, v4, v1
	v_and_b32_e32 v7, v7, v0
	v_lshlrev_b32_e32 v1, 29, v6
	v_mov_b32_e32 v0, v5
	v_cmp_gt_i64_e32 vcc, 0, v[0:1]
	v_not_b32_e32 v0, v1
	v_ashrrev_i32_e32 v0, 31, v0
	v_xor_b32_e32 v1, vcc_hi, v0
	v_xor_b32_e32 v0, vcc_lo, v0
	v_and_b32_e32 v4, v4, v1
	v_and_b32_e32 v7, v7, v0
	;; [unrolled: 9-line block ×7, first 2 shown]
	v_mbcnt_lo_u32_b32 v4, v0, 0
	v_mbcnt_hi_u32_b32 v26, v1, v4
	v_cmp_eq_u32_e32 vcc, 0, v26
	v_cmp_ne_u64_e64 s[36:37], 0, v[0:1]
	s_and_b64 s[42:43], s[36:37], vcc
	ds_write2_b32 v9, v5, v5 offset0:5 offset1:6
	ds_write2_b32 v10, v5, v5 offset0:2 offset1:3
	s_waitcnt lgkmcnt(0)
	s_barrier
	s_waitcnt lgkmcnt(0)
	; wave barrier
	s_and_saveexec_b64 s[36:37], s[42:43]
	s_cbranch_execz .LBB37_8
; %bb.7:                                ;   in Loop: Header=BB37_6 Depth=2
	v_bcnt_u32_b32 v0, v0, 0
	v_bcnt_u32_b32 v0, v1, v0
	ds_write_b32 v25, v0
.LBB37_8:                               ;   in Loop: Header=BB37_6 Depth=2
	s_or_b64 exec, exec, s[36:37]
	v_bfe_u32 v0, v23, s40, 8
	v_mul_u32_u24_e32 v0, 5, v0
	v_add_lshl_u32 v0, v0, v11, 2
	v_bfe_u32 v4, v23, s40, 1
	; wave barrier
	v_add_u32_e32 v28, 20, v0
	ds_read_b32 v27, v0 offset:20
	v_lshl_add_u64 v[0:1], v[4:5], 0, -1
	v_cmp_ne_u32_e32 vcc, 0, v4
	v_lshrrev_b32_e32 v6, s40, v23
	s_nop 0
	v_xor_b32_e32 v1, vcc_hi, v1
	v_xor_b32_e32 v0, vcc_lo, v0
	v_and_b32_e32 v4, exec_hi, v1
	v_and_b32_e32 v7, exec_lo, v0
	v_lshlrev_b32_e32 v1, 30, v6
	v_mov_b32_e32 v0, v5
	v_cmp_gt_i64_e32 vcc, 0, v[0:1]
	v_not_b32_e32 v0, v1
	v_ashrrev_i32_e32 v0, 31, v0
	v_xor_b32_e32 v1, vcc_hi, v0
	v_xor_b32_e32 v0, vcc_lo, v0
	v_and_b32_e32 v4, v4, v1
	v_and_b32_e32 v7, v7, v0
	v_lshlrev_b32_e32 v1, 29, v6
	v_mov_b32_e32 v0, v5
	v_cmp_gt_i64_e32 vcc, 0, v[0:1]
	v_not_b32_e32 v0, v1
	v_ashrrev_i32_e32 v0, 31, v0
	v_xor_b32_e32 v1, vcc_hi, v0
	v_xor_b32_e32 v0, vcc_lo, v0
	v_and_b32_e32 v4, v4, v1
	v_and_b32_e32 v7, v7, v0
	;; [unrolled: 9-line block ×7, first 2 shown]
	v_mbcnt_lo_u32_b32 v4, v0, 0
	v_mbcnt_hi_u32_b32 v4, v1, v4
	v_cmp_eq_u32_e32 vcc, 0, v4
	v_cmp_ne_u64_e64 s[36:37], 0, v[0:1]
	s_and_b64 s[42:43], s[36:37], vcc
	; wave barrier
	s_and_saveexec_b64 s[36:37], s[42:43]
	s_cbranch_execz .LBB37_10
; %bb.9:                                ;   in Loop: Header=BB37_6 Depth=2
	v_bcnt_u32_b32 v0, v0, 0
	v_bcnt_u32_b32 v0, v1, v0
	s_waitcnt lgkmcnt(0)
	v_add_u32_e32 v0, v27, v0
	ds_write_b32 v28, v0
.LBB37_10:                              ;   in Loop: Header=BB37_6 Depth=2
	s_or_b64 exec, exec, s[36:37]
	; wave barrier
	s_waitcnt lgkmcnt(0)
	s_barrier
	ds_read2_b32 v[6:7], v9 offset0:5 offset1:6
	ds_read2_b32 v[0:1], v10 offset0:2 offset1:3
	s_waitcnt lgkmcnt(1)
	v_add_u32_e32 v29, v7, v6
	s_waitcnt lgkmcnt(0)
	v_add3_u32 v1, v29, v0, v1
	s_nop 1
	v_mov_b32_dpp v29, v1 row_shr:1 row_mask:0xf bank_mask:0xf
	v_cndmask_b32_e64 v29, v29, 0, s[4:5]
	v_add_u32_e32 v1, v29, v1
	s_nop 1
	v_mov_b32_dpp v29, v1 row_shr:2 row_mask:0xf bank_mask:0xf
	v_cndmask_b32_e64 v29, 0, v29, s[6:7]
	v_add_u32_e32 v1, v1, v29
	;; [unrolled: 4-line block ×4, first 2 shown]
	s_nop 1
	v_mov_b32_dpp v29, v1 row_bcast:15 row_mask:0xf bank_mask:0xf
	v_cndmask_b32_e64 v29, v29, 0, s[12:13]
	v_add_u32_e32 v1, v1, v29
	s_nop 1
	v_mov_b32_dpp v29, v1 row_bcast:31 row_mask:0xf bank_mask:0xf
	v_cndmask_b32_e64 v29, 0, v29, s[14:15]
	v_add_u32_e32 v1, v1, v29
	s_and_saveexec_b64 s[36:37], s[16:17]
	s_cbranch_execz .LBB37_12
; %bb.11:                               ;   in Loop: Header=BB37_6 Depth=2
	ds_write_b32 v14, v1
.LBB37_12:                              ;   in Loop: Header=BB37_6 Depth=2
	s_or_b64 exec, exec, s[36:37]
	s_waitcnt lgkmcnt(0)
	s_barrier
	s_and_saveexec_b64 s[36:37], s[18:19]
	s_cbranch_execz .LBB37_14
; %bb.13:                               ;   in Loop: Header=BB37_6 Depth=2
	ds_read_b32 v29, v15
	s_waitcnt lgkmcnt(0)
	s_nop 0
	v_mov_b32_dpp v30, v29 row_shr:1 row_mask:0xf bank_mask:0xf
	v_cndmask_b32_e64 v30, v30, 0, s[28:29]
	v_add_u32_e32 v29, v30, v29
	s_nop 1
	v_mov_b32_dpp v30, v29 row_shr:2 row_mask:0xf bank_mask:0xf
	v_cndmask_b32_e64 v30, 0, v30, s[30:31]
	v_add_u32_e32 v29, v29, v30
	;; [unrolled: 4-line block ×3, first 2 shown]
	ds_write_b32 v15, v29
.LBB37_14:                              ;   in Loop: Header=BB37_6 Depth=2
	s_or_b64 exec, exec, s[36:37]
	v_mov_b32_e32 v29, 0
	s_waitcnt lgkmcnt(0)
	s_barrier
	s_and_saveexec_b64 s[36:37], s[20:21]
	s_cbranch_execz .LBB37_16
; %bb.15:                               ;   in Loop: Header=BB37_6 Depth=2
	ds_read_b32 v29, v16
.LBB37_16:                              ;   in Loop: Header=BB37_6 Depth=2
	s_or_b64 exec, exec, s[36:37]
	s_waitcnt lgkmcnt(0)
	v_add_u32_e32 v1, v29, v1
	ds_bpermute_b32 v1, v12, v1
	s_cmp_gt_u32 s40, 23
	s_waitcnt lgkmcnt(0)
	v_cndmask_b32_e64 v1, v1, v29, s[22:23]
	v_cndmask_b32_e64 v1, v1, 0, s[24:25]
	v_add_u32_e32 v6, v1, v6
	v_add_u32_e32 v7, v6, v7
	;; [unrolled: 1-line block ×3, first 2 shown]
	ds_write2_b32 v9, v1, v6 offset0:5 offset1:6
	ds_write2_b32 v10, v7, v0 offset0:2 offset1:3
	s_waitcnt lgkmcnt(0)
	s_barrier
	ds_read_b32 v0, v25
	ds_read_b32 v1, v28
	s_waitcnt lgkmcnt(1)
	v_add_u32_e32 v6, v0, v26
	s_waitcnt lgkmcnt(0)
	v_add3_u32 v4, v4, v27, v1
	s_cbranch_scc0 .LBB37_5
; %bb.17:                               ;   in Loop: Header=BB37_2 Depth=1
                                        ; implicit-def: $vgpr1
                                        ; implicit-def: $sgpr40
.LBB37_18:                              ;   in Loop: Header=BB37_2 Depth=1
	v_lshlrev_b32_e32 v0, 2, v6
	s_barrier
	ds_write_b32 v0, v24
	v_lshlrev_b32_e32 v0, 2, v4
	ds_write_b32 v0, v23
	s_waitcnt lgkmcnt(0)
	s_barrier
	ds_read_b64 v[0:1], v19
	s_waitcnt lgkmcnt(0)
	s_barrier
	s_and_saveexec_b64 s[36:37], s[0:1]
	s_cbranch_execz .LBB37_20
; %bb.19:                               ;   in Loop: Header=BB37_2 Depth=1
	ds_write2st64_b32 v15, v22, v22 offset0:10 offset1:15
.LBB37_20:                              ;   in Loop: Header=BB37_2 Depth=1
	s_or_b64 exec, exec, s[36:37]
	v_xor_b32_e32 v6, 0x80000000, v0
	v_xor_b32_e32 v7, 0x80000000, v1
	v_cmp_ne_u32_e32 vcc, v0, v1
	v_lshlrev_b32_e32 v0, 2, v6
	s_waitcnt lgkmcnt(0)
	s_barrier
	ds_write_b32 v15, v7
	s_and_saveexec_b64 s[36:37], vcc
	s_cbranch_execz .LBB37_22
; %bb.21:                               ;   in Loop: Header=BB37_2 Depth=1
	v_lshlrev_b32_e32 v1, 2, v7
	ds_write_b32 v1, v20 offset:2560
	ds_write_b32 v0, v20 offset:3840
.LBB37_22:                              ;   in Loop: Header=BB37_2 Depth=1
	s_or_b64 exec, exec, s[36:37]
	s_waitcnt lgkmcnt(0)
	s_barrier
	s_and_saveexec_b64 s[36:37], s[26:27]
	s_cbranch_execz .LBB37_25
; %bb.23:                               ;   in Loop: Header=BB37_2 Depth=1
	ds_read_b32 v1, v21
	s_waitcnt lgkmcnt(0)
	v_cmp_ne_u32_e32 vcc, v1, v6
	s_and_b64 exec, exec, vcc
	s_cbranch_execz .LBB37_25
; %bb.24:                               ;   in Loop: Header=BB37_2 Depth=1
	ds_write_b32 v0, v17 offset:2560
	ds_read_b32 v1, v21
	s_waitcnt lgkmcnt(0)
	v_lshlrev_b32_e32 v1, 2, v1
	ds_write_b32 v1, v17 offset:3840
.LBB37_25:                              ;   in Loop: Header=BB37_2 Depth=1
	s_or_b64 exec, exec, s[36:37]
	s_waitcnt lgkmcnt(0)
	s_barrier
	s_and_saveexec_b64 s[36:37], s[24:25]
	s_cbranch_execz .LBB37_27
; %bb.26:                               ;   in Loop: Header=BB37_2 Depth=1
	ds_write_b32 v0, v5 offset:2560
.LBB37_27:                              ;   in Loop: Header=BB37_2 Depth=1
	s_or_b64 exec, exec, s[36:37]
	s_waitcnt lgkmcnt(0)
	s_barrier
	s_and_saveexec_b64 s[36:37], s[0:1]
	s_cbranch_execz .LBB37_1
; %bb.28:                               ;   in Loop: Header=BB37_2 Depth=1
	ds_read2st64_b32 v[0:1], v15 offset0:10 offset1:15
	ds_read_b32 v4, v13
	s_waitcnt lgkmcnt(1)
	v_sub_u32_e32 v0, v1, v0
	s_waitcnt lgkmcnt(0)
	v_add_u32_e32 v0, v0, v4
	ds_write_b32 v13, v0
	s_branch .LBB37_1
.LBB37_29:
	s_and_saveexec_b64 s[2:3], s[0:1]
	s_cbranch_execz .LBB37_31
; %bb.30:
	ds_read_b32 v4, v13
	v_mov_b32_e32 v0, s38
	v_mov_b32_e32 v1, s39
	;; [unrolled: 1-line block ×3, first 2 shown]
	v_lshl_add_u64 v[0:1], v[2:3], 2, v[0:1]
	s_waitcnt lgkmcnt(0)
	global_store_dword v[0:1], v4, off
.LBB37_31:
	s_endpgm
	.section	.rodata,"a",@progbits
	.p2align	6, 0x0
	.amdhsa_kernel _Z6kernelI9histogramILN6hipcub23BlockHistogramAlgorithmE1EEiLj320ELj2ELj320ELj100EEvPKT0_PS4_
		.amdhsa_group_segment_fixed_size 6432
		.amdhsa_private_segment_fixed_size 0
		.amdhsa_kernarg_size 272
		.amdhsa_user_sgpr_count 2
		.amdhsa_user_sgpr_dispatch_ptr 0
		.amdhsa_user_sgpr_queue_ptr 0
		.amdhsa_user_sgpr_kernarg_segment_ptr 1
		.amdhsa_user_sgpr_dispatch_id 0
		.amdhsa_user_sgpr_kernarg_preload_length 0
		.amdhsa_user_sgpr_kernarg_preload_offset 0
		.amdhsa_user_sgpr_private_segment_size 0
		.amdhsa_uses_dynamic_stack 0
		.amdhsa_enable_private_segment 0
		.amdhsa_system_sgpr_workgroup_id_x 1
		.amdhsa_system_sgpr_workgroup_id_y 0
		.amdhsa_system_sgpr_workgroup_id_z 0
		.amdhsa_system_sgpr_workgroup_info 0
		.amdhsa_system_vgpr_workitem_id 2
		.amdhsa_next_free_vgpr 31
		.amdhsa_next_free_sgpr 44
		.amdhsa_accum_offset 32
		.amdhsa_reserve_vcc 1
		.amdhsa_float_round_mode_32 0
		.amdhsa_float_round_mode_16_64 0
		.amdhsa_float_denorm_mode_32 3
		.amdhsa_float_denorm_mode_16_64 3
		.amdhsa_dx10_clamp 1
		.amdhsa_ieee_mode 1
		.amdhsa_fp16_overflow 0
		.amdhsa_tg_split 0
		.amdhsa_exception_fp_ieee_invalid_op 0
		.amdhsa_exception_fp_denorm_src 0
		.amdhsa_exception_fp_ieee_div_zero 0
		.amdhsa_exception_fp_ieee_overflow 0
		.amdhsa_exception_fp_ieee_underflow 0
		.amdhsa_exception_fp_ieee_inexact 0
		.amdhsa_exception_int_div_zero 0
	.end_amdhsa_kernel
	.section	.text._Z6kernelI9histogramILN6hipcub23BlockHistogramAlgorithmE1EEiLj320ELj2ELj320ELj100EEvPKT0_PS4_,"axG",@progbits,_Z6kernelI9histogramILN6hipcub23BlockHistogramAlgorithmE1EEiLj320ELj2ELj320ELj100EEvPKT0_PS4_,comdat
.Lfunc_end37:
	.size	_Z6kernelI9histogramILN6hipcub23BlockHistogramAlgorithmE1EEiLj320ELj2ELj320ELj100EEvPKT0_PS4_, .Lfunc_end37-_Z6kernelI9histogramILN6hipcub23BlockHistogramAlgorithmE1EEiLj320ELj2ELj320ELj100EEvPKT0_PS4_
                                        ; -- End function
	.section	.AMDGPU.csdata,"",@progbits
; Kernel info:
; codeLenInByte = 2276
; NumSgprs: 50
; NumVgprs: 31
; NumAgprs: 0
; TotalNumVgprs: 31
; ScratchSize: 0
; MemoryBound: 0
; FloatMode: 240
; IeeeMode: 1
; LDSByteSize: 6432 bytes/workgroup (compile time only)
; SGPRBlocks: 6
; VGPRBlocks: 3
; NumSGPRsForWavesPerEU: 50
; NumVGPRsForWavesPerEU: 31
; AccumOffset: 32
; Occupancy: 8
; WaveLimiterHint : 0
; COMPUTE_PGM_RSRC2:SCRATCH_EN: 0
; COMPUTE_PGM_RSRC2:USER_SGPR: 2
; COMPUTE_PGM_RSRC2:TRAP_HANDLER: 0
; COMPUTE_PGM_RSRC2:TGID_X_EN: 1
; COMPUTE_PGM_RSRC2:TGID_Y_EN: 0
; COMPUTE_PGM_RSRC2:TGID_Z_EN: 0
; COMPUTE_PGM_RSRC2:TIDIG_COMP_CNT: 2
; COMPUTE_PGM_RSRC3_GFX90A:ACCUM_OFFSET: 7
; COMPUTE_PGM_RSRC3_GFX90A:TG_SPLIT: 0
	.section	.text._Z6kernelI9histogramILN6hipcub23BlockHistogramAlgorithmE1EEiLj320ELj3ELj320ELj100EEvPKT0_PS4_,"axG",@progbits,_Z6kernelI9histogramILN6hipcub23BlockHistogramAlgorithmE1EEiLj320ELj3ELj320ELj100EEvPKT0_PS4_,comdat
	.protected	_Z6kernelI9histogramILN6hipcub23BlockHistogramAlgorithmE1EEiLj320ELj3ELj320ELj100EEvPKT0_PS4_ ; -- Begin function _Z6kernelI9histogramILN6hipcub23BlockHistogramAlgorithmE1EEiLj320ELj3ELj320ELj100EEvPKT0_PS4_
	.globl	_Z6kernelI9histogramILN6hipcub23BlockHistogramAlgorithmE1EEiLj320ELj3ELj320ELj100EEvPKT0_PS4_
	.p2align	8
	.type	_Z6kernelI9histogramILN6hipcub23BlockHistogramAlgorithmE1EEiLj320ELj3ELj320ELj100EEvPKT0_PS4_,@function
_Z6kernelI9histogramILN6hipcub23BlockHistogramAlgorithmE1EEiLj320ELj3ELj320ELj100EEvPKT0_PS4_: ; @_Z6kernelI9histogramILN6hipcub23BlockHistogramAlgorithmE1EEiLj320ELj3ELj320ELj100EEvPKT0_PS4_
; %bb.0:
	s_load_dwordx4 s[36:39], s[0:1], 0x0
	s_load_dword s3, s[0:1], 0x1c
	s_mulk_i32 s2, 0x140
	v_and_b32_e32 v22, 0x3ff, v0
	v_add_u32_e32 v2, s2, v22
	v_lshl_add_u32 v4, v2, 1, v2
	v_mov_b32_e32 v5, 0
	s_waitcnt lgkmcnt(0)
	v_lshl_add_u64 v[8:9], v[4:5], 2, s[36:37]
	v_add_u32_e32 v6, 1, v4
	v_mov_b32_e32 v7, v5
	v_add_u32_e32 v4, 2, v4
	v_lshl_add_u64 v[10:11], v[6:7], 2, s[36:37]
	v_lshl_add_u64 v[12:13], v[4:5], 2, s[36:37]
	global_load_dword v4, v[8:9], off
	global_load_dword v6, v[10:11], off
	;; [unrolled: 1-line block ×3, first 2 shown]
	v_mbcnt_lo_u32_b32 v1, -1, 0
	v_lshrrev_b32_e32 v14, 6, v22
	v_mbcnt_hi_u32_b32 v13, -1, v1
	v_mul_u32_u24_e32 v1, 0xc0, v14
	v_lshlrev_b32_e32 v3, 2, v1
	v_add_lshl_u32 v8, v13, v1, 2
	s_lshr_b32 s2, s3, 16
	v_bfe_u32 v1, v0, 10, 10
	v_bfe_u32 v0, v0, 20, 10
	s_and_b32 s3, s3, 0xffff
	v_mad_u32_u24 v0, v0, s2, v1
	v_mad_u64_u32 v[0:1], s[2:3], v0, s3, v[22:23]
	v_lshrrev_b32_e32 v11, 6, v0
	v_and_b32_e32 v0, 15, v13
	v_cmp_eq_u32_e64 s[2:3], 0, v0
	v_cmp_lt_u32_e64 s[4:5], 1, v0
	v_cmp_lt_u32_e64 s[6:7], 3, v0
	;; [unrolled: 1-line block ×3, first 2 shown]
	v_and_b32_e32 v0, 16, v13
	v_cmp_eq_u32_e64 s[10:11], 0, v0
	v_and_b32_e32 v0, 0x1c0, v22
	v_min_u32_e32 v0, 0x100, v0
	v_or_b32_e32 v0, 63, v0
	v_cmp_eq_u32_e64 s[14:15], v0, v22
	v_add_u32_e32 v0, -1, v13
	v_and_b32_e32 v1, 64, v13
	v_cmp_lt_i32_e32 vcc, v0, v1
	v_lshlrev_b32_e32 v9, 4, v22
	s_movk_i32 s0, 0x140
	v_cndmask_b32_e32 v0, v0, v13, vcc
	v_lshlrev_b32_e32 v12, 2, v0
	v_and_b32_e32 v0, 7, v13
	v_lshlrev_b32_e32 v14, 2, v14
	v_mad_i32_i24 v15, v22, -12, v9
	v_cmp_eq_u32_e64 s[26:27], 0, v0
	v_cmp_lt_u32_e64 s[28:29], 1, v0
	v_cmp_lt_u32_e64 s[30:31], 3, v0
	v_mov_b32_e32 v0, 0x1420
	s_mov_b32 s33, 0
	v_cmp_gt_u32_e64 s[0:1], s0, v22
	v_mad_u32_u24 v3, v13, 12, v3
	v_add_u32_e32 v10, 20, v9
	v_cmp_lt_u32_e64 s[12:13], 31, v13
	v_cmp_gt_u32_e64 s[16:17], 5, v22
	v_cmp_lt_u32_e64 s[18:19], 63, v22
	v_cmp_eq_u32_e64 s[20:21], 0, v13
	v_cmp_eq_u32_e64 s[22:23], 0, v22
	v_cmp_ne_u32_e64 s[24:25], 0, v22
	v_add_u32_e32 v16, -4, v14
	v_mul_u32_u24_e32 v17, 3, v22
	v_lshl_add_u32 v18, v22, 3, v15
	v_mad_u32_u24 v19, v22, 3, 1
	v_mad_u32_u24 v20, v22, 3, 2
	v_lshl_add_u32 v13, v22, 2, v0
	v_add_u32_e32 v21, -4, v15
	v_mov_b32_e32 v22, 0x3c0
	s_branch .LBB38_2
.LBB38_1:                               ;   in Loop: Header=BB38_2 Depth=1
	s_or_b64 exec, exec, s[34:35]
	s_add_i32 s33, s33, 1
	s_cmpk_lg_i32 s33, 0x64
	s_cbranch_scc0 .LBB38_33
.LBB38_2:                               ; =>This Loop Header: Depth=1
                                        ;     Child Loop BB38_6 Depth 2
	s_and_saveexec_b64 s[34:35], s[0:1]
	s_cbranch_execz .LBB38_4
; %bb.3:                                ;   in Loop: Header=BB38_2 Depth=1
	ds_write_b32 v13, v5
.LBB38_4:                               ;   in Loop: Header=BB38_2 Depth=1
	s_or_b64 exec, exec, s[34:35]
	s_waitcnt vmcnt(0)
	v_xor_b32_e32 v0, 0x80000000, v7
	v_xor_b32_e32 v1, 0x80000000, v6
	v_xor_b32_e32 v4, 0x80000000, v4
	s_waitcnt lgkmcnt(0)
	s_barrier
	ds_write2_b32 v3, v4, v1 offset1:1
	ds_write_b32 v3, v0 offset:8
	; wave barrier
	ds_read2st64_b32 v[0:1], v8 offset1:1
	ds_read_b32 v26, v8 offset:512
	s_mov_b32 s36, 0
	s_waitcnt lgkmcnt(0)
	s_barrier
	s_waitcnt lgkmcnt(0)
	; wave barrier
	s_barrier
	s_branch .LBB38_6
.LBB38_5:                               ;   in Loop: Header=BB38_6 Depth=2
	v_lshlrev_b32_e32 v0, 2, v7
	s_barrier
	ds_write_b32 v0, v25
	v_lshlrev_b32_e32 v0, 2, v6
	ds_write_b32 v0, v24
	v_lshlrev_b32_e32 v0, 2, v4
	ds_write_b32 v0, v23
	s_waitcnt lgkmcnt(0)
	s_barrier
	ds_read2st64_b32 v[0:1], v8 offset1:1
	ds_read_b32 v26, v8 offset:512
	s_add_i32 s36, s36, 8
	s_waitcnt lgkmcnt(0)
	s_barrier
	s_cbranch_execz .LBB38_20
.LBB38_6:                               ;   Parent Loop BB38_2 Depth=1
                                        ; =>  This Inner Loop Header: Depth=2
	v_mov_b32_e32 v25, v0
	v_bfe_u32 v0, v25, s36, 8
	v_mad_u32_u24 v0, v0, 5, v11
	v_bfe_u32 v4, v25, s36, 1
	v_mov_b32_e32 v23, v26
	v_mov_b32_e32 v24, v1
	v_lshl_add_u32 v26, v0, 2, 20
	v_lshl_add_u64 v[0:1], v[4:5], 0, -1
	v_cmp_ne_u32_e32 vcc, 0, v4
	v_lshrrev_b32_e32 v6, s36, v25
	s_nop 0
	v_xor_b32_e32 v1, vcc_hi, v1
	v_xor_b32_e32 v0, vcc_lo, v0
	v_and_b32_e32 v4, exec_hi, v1
	v_and_b32_e32 v7, exec_lo, v0
	v_lshlrev_b32_e32 v1, 30, v6
	v_mov_b32_e32 v0, v5
	v_cmp_gt_i64_e32 vcc, 0, v[0:1]
	v_not_b32_e32 v0, v1
	v_ashrrev_i32_e32 v0, 31, v0
	v_xor_b32_e32 v1, vcc_hi, v0
	v_xor_b32_e32 v0, vcc_lo, v0
	v_and_b32_e32 v4, v4, v1
	v_and_b32_e32 v7, v7, v0
	v_lshlrev_b32_e32 v1, 29, v6
	v_mov_b32_e32 v0, v5
	v_cmp_gt_i64_e32 vcc, 0, v[0:1]
	v_not_b32_e32 v0, v1
	v_ashrrev_i32_e32 v0, 31, v0
	v_xor_b32_e32 v1, vcc_hi, v0
	v_xor_b32_e32 v0, vcc_lo, v0
	v_and_b32_e32 v4, v4, v1
	v_and_b32_e32 v7, v7, v0
	;; [unrolled: 9-line block ×7, first 2 shown]
	v_mbcnt_lo_u32_b32 v4, v0, 0
	v_mbcnt_hi_u32_b32 v27, v1, v4
	v_cmp_eq_u32_e32 vcc, 0, v27
	v_cmp_ne_u64_e64 s[34:35], 0, v[0:1]
	s_and_b64 s[40:41], s[34:35], vcc
	ds_write2_b32 v9, v5, v5 offset0:5 offset1:6
	ds_write2_b32 v10, v5, v5 offset0:2 offset1:3
	s_waitcnt lgkmcnt(0)
	s_barrier
	s_waitcnt lgkmcnt(0)
	; wave barrier
	s_and_saveexec_b64 s[34:35], s[40:41]
	s_cbranch_execz .LBB38_8
; %bb.7:                                ;   in Loop: Header=BB38_6 Depth=2
	v_bcnt_u32_b32 v0, v0, 0
	v_bcnt_u32_b32 v0, v1, v0
	ds_write_b32 v26, v0
.LBB38_8:                               ;   in Loop: Header=BB38_6 Depth=2
	s_or_b64 exec, exec, s[34:35]
	v_bfe_u32 v0, v24, s36, 8
	v_mul_u32_u24_e32 v0, 5, v0
	v_add_lshl_u32 v0, v0, v11, 2
	v_bfe_u32 v4, v24, s36, 1
	; wave barrier
	v_add_u32_e32 v29, 20, v0
	ds_read_b32 v28, v0 offset:20
	v_lshl_add_u64 v[0:1], v[4:5], 0, -1
	v_cmp_ne_u32_e32 vcc, 0, v4
	v_lshrrev_b32_e32 v6, s36, v24
	s_nop 0
	v_xor_b32_e32 v1, vcc_hi, v1
	v_xor_b32_e32 v0, vcc_lo, v0
	v_and_b32_e32 v4, exec_hi, v1
	v_and_b32_e32 v7, exec_lo, v0
	v_lshlrev_b32_e32 v1, 30, v6
	v_mov_b32_e32 v0, v5
	v_cmp_gt_i64_e32 vcc, 0, v[0:1]
	v_not_b32_e32 v0, v1
	v_ashrrev_i32_e32 v0, 31, v0
	v_xor_b32_e32 v1, vcc_hi, v0
	v_xor_b32_e32 v0, vcc_lo, v0
	v_and_b32_e32 v4, v4, v1
	v_and_b32_e32 v7, v7, v0
	v_lshlrev_b32_e32 v1, 29, v6
	v_mov_b32_e32 v0, v5
	v_cmp_gt_i64_e32 vcc, 0, v[0:1]
	v_not_b32_e32 v0, v1
	v_ashrrev_i32_e32 v0, 31, v0
	v_xor_b32_e32 v1, vcc_hi, v0
	v_xor_b32_e32 v0, vcc_lo, v0
	v_and_b32_e32 v4, v4, v1
	v_and_b32_e32 v7, v7, v0
	v_lshlrev_b32_e32 v1, 28, v6
	v_mov_b32_e32 v0, v5
	v_cmp_gt_i64_e32 vcc, 0, v[0:1]
	v_not_b32_e32 v0, v1
	v_ashrrev_i32_e32 v0, 31, v0
	v_xor_b32_e32 v1, vcc_hi, v0
	v_xor_b32_e32 v0, vcc_lo, v0
	v_and_b32_e32 v4, v4, v1
	v_and_b32_e32 v7, v7, v0
	v_lshlrev_b32_e32 v1, 27, v6
	v_mov_b32_e32 v0, v5
	v_cmp_gt_i64_e32 vcc, 0, v[0:1]
	v_not_b32_e32 v0, v1
	v_ashrrev_i32_e32 v0, 31, v0
	v_xor_b32_e32 v1, vcc_hi, v0
	v_xor_b32_e32 v0, vcc_lo, v0
	v_and_b32_e32 v4, v4, v1
	v_and_b32_e32 v7, v7, v0
	v_lshlrev_b32_e32 v1, 26, v6
	v_mov_b32_e32 v0, v5
	v_cmp_gt_i64_e32 vcc, 0, v[0:1]
	v_not_b32_e32 v0, v1
	v_ashrrev_i32_e32 v0, 31, v0
	v_xor_b32_e32 v1, vcc_hi, v0
	v_xor_b32_e32 v0, vcc_lo, v0
	v_and_b32_e32 v4, v4, v1
	v_and_b32_e32 v7, v7, v0
	v_lshlrev_b32_e32 v1, 25, v6
	v_mov_b32_e32 v0, v5
	v_cmp_gt_i64_e32 vcc, 0, v[0:1]
	v_not_b32_e32 v0, v1
	v_ashrrev_i32_e32 v0, 31, v0
	v_xor_b32_e32 v1, vcc_hi, v0
	v_xor_b32_e32 v0, vcc_lo, v0
	v_and_b32_e32 v4, v4, v1
	v_and_b32_e32 v7, v7, v0
	v_lshlrev_b32_e32 v1, 24, v6
	v_mov_b32_e32 v0, v5
	v_cmp_gt_i64_e32 vcc, 0, v[0:1]
	v_not_b32_e32 v0, v1
	v_ashrrev_i32_e32 v0, 31, v0
	v_xor_b32_e32 v1, vcc_hi, v0
	v_xor_b32_e32 v0, vcc_lo, v0
	v_and_b32_e32 v0, v7, v0
	v_and_b32_e32 v1, v4, v1
	v_mbcnt_lo_u32_b32 v4, v0, 0
	v_mbcnt_hi_u32_b32 v30, v1, v4
	v_cmp_eq_u32_e32 vcc, 0, v30
	v_cmp_ne_u64_e64 s[34:35], 0, v[0:1]
	s_and_b64 s[40:41], s[34:35], vcc
	; wave barrier
	s_and_saveexec_b64 s[34:35], s[40:41]
	s_cbranch_execz .LBB38_10
; %bb.9:                                ;   in Loop: Header=BB38_6 Depth=2
	v_bcnt_u32_b32 v0, v0, 0
	v_bcnt_u32_b32 v0, v1, v0
	s_waitcnt lgkmcnt(0)
	v_add_u32_e32 v0, v28, v0
	ds_write_b32 v29, v0
.LBB38_10:                              ;   in Loop: Header=BB38_6 Depth=2
	s_or_b64 exec, exec, s[34:35]
	v_bfe_u32 v0, v23, s36, 8
	v_mul_u32_u24_e32 v0, 5, v0
	v_add_lshl_u32 v0, v0, v11, 2
	v_bfe_u32 v4, v23, s36, 1
	; wave barrier
	v_add_u32_e32 v32, 20, v0
	ds_read_b32 v31, v0 offset:20
	v_lshl_add_u64 v[0:1], v[4:5], 0, -1
	v_cmp_ne_u32_e32 vcc, 0, v4
	v_lshrrev_b32_e32 v6, s36, v23
	s_nop 0
	v_xor_b32_e32 v1, vcc_hi, v1
	v_xor_b32_e32 v0, vcc_lo, v0
	v_and_b32_e32 v4, exec_hi, v1
	v_and_b32_e32 v7, exec_lo, v0
	v_lshlrev_b32_e32 v1, 30, v6
	v_mov_b32_e32 v0, v5
	v_cmp_gt_i64_e32 vcc, 0, v[0:1]
	v_not_b32_e32 v0, v1
	v_ashrrev_i32_e32 v0, 31, v0
	v_xor_b32_e32 v1, vcc_hi, v0
	v_xor_b32_e32 v0, vcc_lo, v0
	v_and_b32_e32 v4, v4, v1
	v_and_b32_e32 v7, v7, v0
	v_lshlrev_b32_e32 v1, 29, v6
	v_mov_b32_e32 v0, v5
	v_cmp_gt_i64_e32 vcc, 0, v[0:1]
	v_not_b32_e32 v0, v1
	v_ashrrev_i32_e32 v0, 31, v0
	v_xor_b32_e32 v1, vcc_hi, v0
	v_xor_b32_e32 v0, vcc_lo, v0
	v_and_b32_e32 v4, v4, v1
	v_and_b32_e32 v7, v7, v0
	;; [unrolled: 9-line block ×7, first 2 shown]
	v_mbcnt_lo_u32_b32 v4, v0, 0
	v_mbcnt_hi_u32_b32 v4, v1, v4
	v_cmp_eq_u32_e32 vcc, 0, v4
	v_cmp_ne_u64_e64 s[34:35], 0, v[0:1]
	s_and_b64 s[40:41], s[34:35], vcc
	; wave barrier
	s_and_saveexec_b64 s[34:35], s[40:41]
	s_cbranch_execz .LBB38_12
; %bb.11:                               ;   in Loop: Header=BB38_6 Depth=2
	v_bcnt_u32_b32 v0, v0, 0
	v_bcnt_u32_b32 v0, v1, v0
	s_waitcnt lgkmcnt(0)
	v_add_u32_e32 v0, v31, v0
	ds_write_b32 v32, v0
.LBB38_12:                              ;   in Loop: Header=BB38_6 Depth=2
	s_or_b64 exec, exec, s[34:35]
	; wave barrier
	s_waitcnt lgkmcnt(0)
	s_barrier
	ds_read2_b32 v[6:7], v9 offset0:5 offset1:6
	ds_read2_b32 v[0:1], v10 offset0:2 offset1:3
	s_waitcnt lgkmcnt(1)
	v_add_u32_e32 v33, v7, v6
	s_waitcnt lgkmcnt(0)
	v_add3_u32 v1, v33, v0, v1
	s_nop 1
	v_mov_b32_dpp v33, v1 row_shr:1 row_mask:0xf bank_mask:0xf
	v_cndmask_b32_e64 v33, v33, 0, s[2:3]
	v_add_u32_e32 v1, v33, v1
	s_nop 1
	v_mov_b32_dpp v33, v1 row_shr:2 row_mask:0xf bank_mask:0xf
	v_cndmask_b32_e64 v33, 0, v33, s[4:5]
	v_add_u32_e32 v1, v1, v33
	;; [unrolled: 4-line block ×4, first 2 shown]
	s_nop 1
	v_mov_b32_dpp v33, v1 row_bcast:15 row_mask:0xf bank_mask:0xf
	v_cndmask_b32_e64 v33, v33, 0, s[10:11]
	v_add_u32_e32 v1, v1, v33
	s_nop 1
	v_mov_b32_dpp v33, v1 row_bcast:31 row_mask:0xf bank_mask:0xf
	v_cndmask_b32_e64 v33, 0, v33, s[12:13]
	v_add_u32_e32 v1, v1, v33
	s_and_saveexec_b64 s[34:35], s[14:15]
	s_cbranch_execz .LBB38_14
; %bb.13:                               ;   in Loop: Header=BB38_6 Depth=2
	ds_write_b32 v14, v1
.LBB38_14:                              ;   in Loop: Header=BB38_6 Depth=2
	s_or_b64 exec, exec, s[34:35]
	s_waitcnt lgkmcnt(0)
	s_barrier
	s_and_saveexec_b64 s[34:35], s[16:17]
	s_cbranch_execz .LBB38_16
; %bb.15:                               ;   in Loop: Header=BB38_6 Depth=2
	ds_read_b32 v33, v15
	s_waitcnt lgkmcnt(0)
	s_nop 0
	v_mov_b32_dpp v34, v33 row_shr:1 row_mask:0xf bank_mask:0xf
	v_cndmask_b32_e64 v34, v34, 0, s[26:27]
	v_add_u32_e32 v33, v34, v33
	s_nop 1
	v_mov_b32_dpp v34, v33 row_shr:2 row_mask:0xf bank_mask:0xf
	v_cndmask_b32_e64 v34, 0, v34, s[28:29]
	v_add_u32_e32 v33, v33, v34
	s_nop 1
	v_mov_b32_dpp v34, v33 row_shr:4 row_mask:0xf bank_mask:0xf
	v_cndmask_b32_e64 v34, 0, v34, s[30:31]
	v_add_u32_e32 v33, v33, v34
	ds_write_b32 v15, v33
.LBB38_16:                              ;   in Loop: Header=BB38_6 Depth=2
	s_or_b64 exec, exec, s[34:35]
	v_mov_b32_e32 v33, 0
	s_waitcnt lgkmcnt(0)
	s_barrier
	s_and_saveexec_b64 s[34:35], s[18:19]
	s_cbranch_execz .LBB38_18
; %bb.17:                               ;   in Loop: Header=BB38_6 Depth=2
	ds_read_b32 v33, v16
.LBB38_18:                              ;   in Loop: Header=BB38_6 Depth=2
	s_or_b64 exec, exec, s[34:35]
	s_waitcnt lgkmcnt(0)
	v_add_u32_e32 v1, v33, v1
	ds_bpermute_b32 v1, v12, v1
	s_cmp_gt_u32 s36, 23
	s_waitcnt lgkmcnt(0)
	v_cndmask_b32_e64 v1, v1, v33, s[20:21]
	v_cndmask_b32_e64 v1, v1, 0, s[22:23]
	v_add_u32_e32 v6, v1, v6
	v_add_u32_e32 v7, v6, v7
	;; [unrolled: 1-line block ×3, first 2 shown]
	ds_write2_b32 v9, v1, v6 offset0:5 offset1:6
	ds_write2_b32 v10, v7, v0 offset0:2 offset1:3
	s_waitcnt lgkmcnt(0)
	s_barrier
	ds_read_b32 v0, v26
	ds_read_b32 v1, v29
	;; [unrolled: 1-line block ×3, first 2 shown]
	s_waitcnt lgkmcnt(2)
	v_add_u32_e32 v7, v0, v27
	s_waitcnt lgkmcnt(1)
	v_add3_u32 v6, v30, v28, v1
	s_waitcnt lgkmcnt(0)
	v_add3_u32 v4, v4, v31, v26
	s_cbranch_scc0 .LBB38_5
; %bb.19:                               ;   in Loop: Header=BB38_2 Depth=1
                                        ; implicit-def: $vgpr26
                                        ; implicit-def: $vgpr1
                                        ; implicit-def: $sgpr36
.LBB38_20:                              ;   in Loop: Header=BB38_2 Depth=1
	v_lshlrev_b32_e32 v0, 2, v7
	s_barrier
	ds_write_b32 v0, v25
	v_lshlrev_b32_e32 v0, 2, v6
	ds_write_b32 v0, v24
	v_lshlrev_b32_e32 v0, 2, v4
	ds_write_b32 v0, v23
	s_waitcnt lgkmcnt(0)
	s_barrier
	ds_read_b32 v23, v18 offset:8
	ds_read2_b32 v[0:1], v18 offset1:1
	s_waitcnt lgkmcnt(0)
	s_barrier
	s_and_saveexec_b64 s[34:35], s[0:1]
	s_cbranch_execz .LBB38_22
; %bb.21:                               ;   in Loop: Header=BB38_2 Depth=1
	ds_write2st64_b32 v15, v22, v22 offset0:10 offset1:15
.LBB38_22:                              ;   in Loop: Header=BB38_2 Depth=1
	s_or_b64 exec, exec, s[34:35]
	v_xor_b32_e32 v7, 0x80000000, v23
	v_xor_b32_e32 v6, 0x80000000, v1
	;; [unrolled: 1-line block ×3, first 2 shown]
	v_cmp_ne_u32_e32 vcc, v1, v23
	v_mov_b32_e32 v1, v7
	s_waitcnt lgkmcnt(0)
	s_barrier
	ds_write_b32 v15, v7
	s_and_saveexec_b64 s[34:35], vcc
	s_cbranch_execz .LBB38_24
; %bb.23:                               ;   in Loop: Header=BB38_2 Depth=1
	v_lshlrev_b32_e32 v0, 2, v7
	v_lshlrev_b32_e32 v1, 2, v6
	ds_write_b32 v0, v20 offset:2560
	ds_write_b32 v1, v20 offset:3840
	v_mov_b32_e32 v1, v6
.LBB38_24:                              ;   in Loop: Header=BB38_2 Depth=1
	s_or_b64 exec, exec, s[34:35]
	v_cmp_ne_u32_e32 vcc, v4, v1
	v_lshlrev_b32_e32 v0, 2, v4
	s_and_saveexec_b64 s[34:35], vcc
	s_cbranch_execz .LBB38_26
; %bb.25:                               ;   in Loop: Header=BB38_2 Depth=1
	v_lshlrev_b32_e32 v1, 2, v1
	ds_write_b32 v1, v19 offset:2560
	ds_write_b32 v0, v19 offset:3840
.LBB38_26:                              ;   in Loop: Header=BB38_2 Depth=1
	s_or_b64 exec, exec, s[34:35]
	s_waitcnt lgkmcnt(0)
	s_barrier
	s_and_saveexec_b64 s[34:35], s[24:25]
	s_cbranch_execz .LBB38_29
; %bb.27:                               ;   in Loop: Header=BB38_2 Depth=1
	ds_read_b32 v1, v21
	s_waitcnt lgkmcnt(0)
	v_cmp_ne_u32_e32 vcc, v1, v4
	s_and_b64 exec, exec, vcc
	s_cbranch_execz .LBB38_29
; %bb.28:                               ;   in Loop: Header=BB38_2 Depth=1
	ds_write_b32 v0, v17 offset:2560
	ds_read_b32 v1, v21
	s_waitcnt lgkmcnt(0)
	v_lshlrev_b32_e32 v1, 2, v1
	ds_write_b32 v1, v17 offset:3840
.LBB38_29:                              ;   in Loop: Header=BB38_2 Depth=1
	s_or_b64 exec, exec, s[34:35]
	s_waitcnt lgkmcnt(0)
	s_barrier
	s_and_saveexec_b64 s[34:35], s[22:23]
	s_cbranch_execz .LBB38_31
; %bb.30:                               ;   in Loop: Header=BB38_2 Depth=1
	ds_write_b32 v0, v5 offset:2560
.LBB38_31:                              ;   in Loop: Header=BB38_2 Depth=1
	s_or_b64 exec, exec, s[34:35]
	s_waitcnt lgkmcnt(0)
	s_barrier
	s_and_saveexec_b64 s[34:35], s[0:1]
	s_cbranch_execz .LBB38_1
; %bb.32:                               ;   in Loop: Header=BB38_2 Depth=1
	ds_read2st64_b32 v[0:1], v15 offset0:10 offset1:15
	ds_read_b32 v23, v13
	s_waitcnt lgkmcnt(1)
	v_sub_u32_e32 v0, v1, v0
	s_waitcnt lgkmcnt(0)
	v_add_u32_e32 v0, v0, v23
	ds_write_b32 v13, v0
	s_branch .LBB38_1
.LBB38_33:
	s_and_saveexec_b64 s[2:3], s[0:1]
	s_cbranch_execz .LBB38_35
; %bb.34:
	ds_read_b32 v4, v13
	v_mov_b32_e32 v0, s38
	v_mov_b32_e32 v1, s39
	;; [unrolled: 1-line block ×3, first 2 shown]
	v_lshl_add_u64 v[0:1], v[2:3], 2, v[0:1]
	s_waitcnt lgkmcnt(0)
	global_store_dword v[0:1], v4, off
.LBB38_35:
	s_endpgm
	.section	.rodata,"a",@progbits
	.p2align	6, 0x0
	.amdhsa_kernel _Z6kernelI9histogramILN6hipcub23BlockHistogramAlgorithmE1EEiLj320ELj3ELj320ELj100EEvPKT0_PS4_
		.amdhsa_group_segment_fixed_size 6432
		.amdhsa_private_segment_fixed_size 0
		.amdhsa_kernarg_size 272
		.amdhsa_user_sgpr_count 2
		.amdhsa_user_sgpr_dispatch_ptr 0
		.amdhsa_user_sgpr_queue_ptr 0
		.amdhsa_user_sgpr_kernarg_segment_ptr 1
		.amdhsa_user_sgpr_dispatch_id 0
		.amdhsa_user_sgpr_kernarg_preload_length 0
		.amdhsa_user_sgpr_kernarg_preload_offset 0
		.amdhsa_user_sgpr_private_segment_size 0
		.amdhsa_uses_dynamic_stack 0
		.amdhsa_enable_private_segment 0
		.amdhsa_system_sgpr_workgroup_id_x 1
		.amdhsa_system_sgpr_workgroup_id_y 0
		.amdhsa_system_sgpr_workgroup_id_z 0
		.amdhsa_system_sgpr_workgroup_info 0
		.amdhsa_system_vgpr_workitem_id 2
		.amdhsa_next_free_vgpr 35
		.amdhsa_next_free_sgpr 42
		.amdhsa_accum_offset 36
		.amdhsa_reserve_vcc 1
		.amdhsa_float_round_mode_32 0
		.amdhsa_float_round_mode_16_64 0
		.amdhsa_float_denorm_mode_32 3
		.amdhsa_float_denorm_mode_16_64 3
		.amdhsa_dx10_clamp 1
		.amdhsa_ieee_mode 1
		.amdhsa_fp16_overflow 0
		.amdhsa_tg_split 0
		.amdhsa_exception_fp_ieee_invalid_op 0
		.amdhsa_exception_fp_denorm_src 0
		.amdhsa_exception_fp_ieee_div_zero 0
		.amdhsa_exception_fp_ieee_overflow 0
		.amdhsa_exception_fp_ieee_underflow 0
		.amdhsa_exception_fp_ieee_inexact 0
		.amdhsa_exception_int_div_zero 0
	.end_amdhsa_kernel
	.section	.text._Z6kernelI9histogramILN6hipcub23BlockHistogramAlgorithmE1EEiLj320ELj3ELj320ELj100EEvPKT0_PS4_,"axG",@progbits,_Z6kernelI9histogramILN6hipcub23BlockHistogramAlgorithmE1EEiLj320ELj3ELj320ELj100EEvPKT0_PS4_,comdat
.Lfunc_end38:
	.size	_Z6kernelI9histogramILN6hipcub23BlockHistogramAlgorithmE1EEiLj320ELj3ELj320ELj100EEvPKT0_PS4_, .Lfunc_end38-_Z6kernelI9histogramILN6hipcub23BlockHistogramAlgorithmE1EEiLj320ELj3ELj320ELj100EEvPKT0_PS4_
                                        ; -- End function
	.section	.AMDGPU.csdata,"",@progbits
; Kernel info:
; codeLenInByte = 2844
; NumSgprs: 48
; NumVgprs: 35
; NumAgprs: 0
; TotalNumVgprs: 35
; ScratchSize: 0
; MemoryBound: 0
; FloatMode: 240
; IeeeMode: 1
; LDSByteSize: 6432 bytes/workgroup (compile time only)
; SGPRBlocks: 5
; VGPRBlocks: 4
; NumSGPRsForWavesPerEU: 48
; NumVGPRsForWavesPerEU: 35
; AccumOffset: 36
; Occupancy: 8
; WaveLimiterHint : 0
; COMPUTE_PGM_RSRC2:SCRATCH_EN: 0
; COMPUTE_PGM_RSRC2:USER_SGPR: 2
; COMPUTE_PGM_RSRC2:TRAP_HANDLER: 0
; COMPUTE_PGM_RSRC2:TGID_X_EN: 1
; COMPUTE_PGM_RSRC2:TGID_Y_EN: 0
; COMPUTE_PGM_RSRC2:TGID_Z_EN: 0
; COMPUTE_PGM_RSRC2:TIDIG_COMP_CNT: 2
; COMPUTE_PGM_RSRC3_GFX90A:ACCUM_OFFSET: 8
; COMPUTE_PGM_RSRC3_GFX90A:TG_SPLIT: 0
	.section	.text._Z6kernelI9histogramILN6hipcub23BlockHistogramAlgorithmE1EEiLj320ELj4ELj320ELj100EEvPKT0_PS4_,"axG",@progbits,_Z6kernelI9histogramILN6hipcub23BlockHistogramAlgorithmE1EEiLj320ELj4ELj320ELj100EEvPKT0_PS4_,comdat
	.protected	_Z6kernelI9histogramILN6hipcub23BlockHistogramAlgorithmE1EEiLj320ELj4ELj320ELj100EEvPKT0_PS4_ ; -- Begin function _Z6kernelI9histogramILN6hipcub23BlockHistogramAlgorithmE1EEiLj320ELj4ELj320ELj100EEvPKT0_PS4_
	.globl	_Z6kernelI9histogramILN6hipcub23BlockHistogramAlgorithmE1EEiLj320ELj4ELj320ELj100EEvPKT0_PS4_
	.p2align	8
	.type	_Z6kernelI9histogramILN6hipcub23BlockHistogramAlgorithmE1EEiLj320ELj4ELj320ELj100EEvPKT0_PS4_,@function
_Z6kernelI9histogramILN6hipcub23BlockHistogramAlgorithmE1EEiLj320ELj4ELj320ELj100EEvPKT0_PS4_: ; @_Z6kernelI9histogramILN6hipcub23BlockHistogramAlgorithmE1EEiLj320ELj4ELj320ELj100EEvPKT0_PS4_
; %bb.0:
	s_load_dwordx4 s[40:43], s[0:1], 0x0
	s_load_dword s8, s[0:1], 0x1c
	s_mulk_i32 s2, 0x140
	v_and_b32_e32 v24, 0x3ff, v0
	v_add_u32_e32 v6, s2, v24
	s_waitcnt lgkmcnt(0)
	v_mov_b32_e32 v2, s40
	v_mov_b32_e32 v3, s41
	v_lshlrev_b32_e32 v8, 2, v6
	v_mov_b32_e32 v9, 0
	v_lshl_add_u64 v[2:3], v[8:9], 2, v[2:3]
	global_load_dwordx4 v[2:5], v[2:3], off
	v_mbcnt_lo_u32_b32 v1, -1, 0
	v_mbcnt_hi_u32_b32 v8, -1, v1
	v_lshrrev_b32_e32 v1, 2, v8
	v_and_b32_e32 v7, 3, v8
	v_and_b32_e32 v20, 64, v8
	v_cmp_eq_u32_e64 s[2:3], 3, v7
	v_cmp_eq_u32_e64 s[4:5], 2, v7
	;; [unrolled: 1-line block ×3, first 2 shown]
	v_or_b32_e32 v7, v1, v20
	v_add_u32_e32 v1, 48, v1
	v_and_or_b32 v1, v1, 63, v20
	v_lshlrev_b32_e32 v12, 2, v1
	s_lshr_b32 s9, s8, 16
	v_bfe_u32 v1, v0, 10, 10
	v_bfe_u32 v0, v0, 20, 10
	s_and_b32 s8, s8, 0xffff
	v_mad_u32_u24 v0, v0, s9, v1
	v_mad_u64_u32 v[0:1], s[8:9], v0, s8, v[24:25]
	v_lshrrev_b32_e32 v19, 6, v0
	v_and_b32_e32 v0, 15, v8
	v_cmp_eq_u32_e64 s[8:9], 0, v0
	v_cmp_lt_u32_e64 s[10:11], 1, v0
	v_cmp_lt_u32_e64 s[12:13], 3, v0
	;; [unrolled: 1-line block ×3, first 2 shown]
	v_and_b32_e32 v0, 16, v8
	v_cmp_eq_u32_e64 s[16:17], 0, v0
	v_and_b32_e32 v0, 0x1c0, v24
	v_min_u32_e32 v0, 0x100, v0
	v_or_b32_e32 v0, 63, v0
	v_cmp_eq_u32_e64 s[20:21], v0, v24
	v_add_u32_e32 v0, -1, v8
	v_cmp_lt_i32_e32 vcc, v0, v20
	v_lshlrev_b32_e32 v13, 2, v24
	s_movk_i32 s40, 0x700
	v_cndmask_b32_e32 v0, v0, v8, vcc
	v_lshlrev_b32_e32 v20, 2, v0
	v_lshrrev_b32_e32 v0, 4, v24
	v_and_b32_e32 v21, 28, v0
	v_and_b32_e32 v0, 7, v8
	v_cmp_eq_u32_e64 s[34:35], 0, v0
	v_cmp_lt_u32_e64 s[36:37], 1, v0
	v_cmp_lt_u32_e64 s[38:39], 3, v0
	v_and_or_b32 v0, v13, s40, v8
	v_lshrrev_b32_e32 v1, 5, v0
	v_add_lshl_u32 v25, v1, v0, 2
	v_add_u32_e32 v1, 64, v0
	v_lshrrev_b32_e32 v1, 5, v1
	v_add_lshl_u32 v26, v1, v0, 2
	v_or_b32_e32 v1, 0x80, v0
	v_lshrrev_b32_e32 v1, 5, v1
	v_add_lshl_u32 v27, v1, v0, 2
	v_add_u32_e32 v1, 0xc0, v0
	v_lshrrev_b32_e32 v1, 5, v1
	v_lshlrev_b32_e32 v14, 4, v24
	v_add_lshl_u32 v28, v1, v0, 2
	v_lshrrev_b32_e32 v0, 1, v24
	s_movk_i32 s0, 0x140
	v_lshlrev_b32_e32 v7, 2, v7
	v_mad_i32_i24 v22, v24, -12, v14
	v_and_b32_e32 v0, 0xfc, v0
	v_cmp_gt_u32_e64 s[0:1], s0, v24
	s_mov_b32 s33, 0
	v_add_u32_e32 v10, 64, v7
	v_or_b32_e32 v11, 0x80, v7
	v_or_b32_e32 v15, 1, v13
	v_add_u32_e32 v16, 20, v14
	v_or_b32_e32 v17, 2, v13
	v_or_b32_e32 v18, 3, v13
	v_cmp_lt_u32_e64 s[18:19], 31, v8
	v_cmp_gt_u32_e64 s[22:23], 5, v24
	v_cmp_lt_u32_e64 s[24:25], 63, v24
	v_cmp_eq_u32_e64 s[26:27], 0, v8
	v_cmp_eq_u32_e64 s[28:29], 0, v24
	v_cmp_ne_u32_e64 s[30:31], 0, v24
	v_add_u32_e32 v23, -4, v21
	v_add_u32_e32 v29, v14, v0
	v_add_u32_e32 v24, 0x14a0, v13
	v_add_u32_e32 v30, -4, v22
	v_mov_b32_e32 v31, 0x500
	s_branch .LBB39_2
.LBB39_1:                               ;   in Loop: Header=BB39_2 Depth=1
	s_or_b64 exec, exec, s[40:41]
	s_add_i32 s33, s33, 1
	s_cmpk_lg_i32 s33, 0x64
	s_cbranch_scc0 .LBB39_37
.LBB39_2:                               ; =>This Loop Header: Depth=1
                                        ;     Child Loop BB39_6 Depth 2
	s_and_saveexec_b64 s[40:41], s[0:1]
	s_cbranch_execz .LBB39_4
; %bb.3:                                ;   in Loop: Header=BB39_2 Depth=1
	ds_write_b32 v24, v9
.LBB39_4:                               ;   in Loop: Header=BB39_2 Depth=1
	s_or_b64 exec, exec, s[40:41]
	s_waitcnt vmcnt(0)
	v_xor_b32_e32 v0, 0x80000000, v2
	v_xor_b32_e32 v1, 0x80000000, v3
	;; [unrolled: 1-line block ×3, first 2 shown]
	ds_bpermute_b32 v3, v7, v0
	ds_bpermute_b32 v4, v7, v1
	;; [unrolled: 1-line block ×3, first 2 shown]
	v_xor_b32_e32 v5, 0x80000000, v5
	ds_bpermute_b32 v32, v10, v0
	ds_bpermute_b32 v33, v10, v1
	s_waitcnt lgkmcnt(3)
	v_cndmask_b32_e64 v3, v3, v4, s[6:7]
	ds_bpermute_b32 v4, v7, v5
	ds_bpermute_b32 v34, v10, v2
	s_waitcnt lgkmcnt(4)
	v_cndmask_b32_e64 v3, v3, v8, s[4:5]
	ds_bpermute_b32 v35, v10, v5
	ds_bpermute_b32 v36, v11, v0
	ds_bpermute_b32 v37, v11, v1
	ds_bpermute_b32 v0, v12, v0
	ds_bpermute_b32 v1, v12, v1
	s_waitcnt lgkmcnt(6)
	v_cndmask_b32_e64 v8, v3, v4, s[2:3]
	ds_bpermute_b32 v4, v11, v2
	ds_bpermute_b32 v2, v12, v2
	v_cndmask_b32_e64 v3, v32, v33, s[6:7]
	ds_bpermute_b32 v32, v11, v5
	ds_bpermute_b32 v5, v12, v5
	s_waitcnt lgkmcnt(9)
	v_cndmask_b32_e64 v3, v3, v34, s[4:5]
	s_waitcnt lgkmcnt(8)
	v_cndmask_b32_e64 v34, v3, v35, s[2:3]
	s_waitcnt lgkmcnt(6)
	v_cndmask_b32_e64 v3, v36, v37, s[6:7]
	s_waitcnt lgkmcnt(4)
	v_cndmask_b32_e64 v0, v0, v1, s[6:7]
	s_waitcnt lgkmcnt(3)
	v_cndmask_b32_e64 v3, v3, v4, s[4:5]
	s_waitcnt lgkmcnt(2)
	v_cndmask_b32_e64 v0, v0, v2, s[4:5]
	s_waitcnt lgkmcnt(1)
	v_cndmask_b32_e64 v35, v3, v32, s[2:3]
	s_waitcnt lgkmcnt(0)
	v_cndmask_b32_e64 v36, v0, v5, s[2:3]
	s_mov_b32 s44, 0
	s_barrier
	s_barrier
	s_branch .LBB39_6
.LBB39_5:                               ;   in Loop: Header=BB39_6 Depth=2
	v_lshrrev_b32_e32 v8, 3, v3
	v_and_b32_e32 v8, 0x1ffffffc, v8
	v_lshl_add_u32 v8, v3, 2, v8
	s_barrier
	ds_write_b32 v8, v33
	v_lshrrev_b32_e32 v8, 3, v2
	v_and_b32_e32 v8, 0x1ffffffc, v8
	v_lshl_add_u32 v8, v2, 2, v8
	ds_write_b32 v8, v32
	v_lshrrev_b32_e32 v8, 3, v1
	v_and_b32_e32 v8, 0x1ffffffc, v8
	v_lshl_add_u32 v8, v1, 2, v8
	;; [unrolled: 4-line block ×3, first 2 shown]
	ds_write_b32 v8, v4
	s_waitcnt lgkmcnt(0)
	s_barrier
	ds_read_b32 v8, v25
	ds_read_b32 v34, v26 offset:256
	ds_read_b32 v35, v27 offset:512
	;; [unrolled: 1-line block ×3, first 2 shown]
	s_add_i32 s44, s44, 8
	s_waitcnt lgkmcnt(0)
	s_barrier
	s_cbranch_execz .LBB39_22
.LBB39_6:                               ;   Parent Loop BB39_2 Depth=1
                                        ; =>  This Inner Loop Header: Depth=2
	v_mov_b32_e32 v33, v8
	v_bfe_u32 v0, v33, s44, 8
	v_mad_u32_u24 v0, v0, 5, v19
	v_bfe_u32 v8, v33, s44, 1
	v_mov_b32_e32 v32, v34
	v_lshl_add_u32 v34, v0, 2, 20
	v_lshl_add_u64 v[0:1], v[8:9], 0, -1
	v_cmp_ne_u32_e32 vcc, 0, v8
	v_lshrrev_b32_e32 v2, s44, v33
	v_mov_b32_e32 v5, v35
	v_xor_b32_e32 v1, vcc_hi, v1
	v_xor_b32_e32 v0, vcc_lo, v0
	v_and_b32_e32 v3, exec_hi, v1
	v_and_b32_e32 v8, exec_lo, v0
	v_lshlrev_b32_e32 v1, 30, v2
	v_mov_b32_e32 v0, v9
	v_cmp_gt_i64_e32 vcc, 0, v[0:1]
	v_not_b32_e32 v0, v1
	v_ashrrev_i32_e32 v0, 31, v0
	v_xor_b32_e32 v1, vcc_hi, v0
	v_xor_b32_e32 v0, vcc_lo, v0
	v_and_b32_e32 v3, v3, v1
	v_and_b32_e32 v8, v8, v0
	v_lshlrev_b32_e32 v1, 29, v2
	v_mov_b32_e32 v0, v9
	v_cmp_gt_i64_e32 vcc, 0, v[0:1]
	v_not_b32_e32 v0, v1
	v_ashrrev_i32_e32 v0, 31, v0
	v_xor_b32_e32 v1, vcc_hi, v0
	v_xor_b32_e32 v0, vcc_lo, v0
	v_and_b32_e32 v3, v3, v1
	v_and_b32_e32 v8, v8, v0
	;; [unrolled: 9-line block ×7, first 2 shown]
	v_mbcnt_lo_u32_b32 v2, v0, 0
	v_mbcnt_hi_u32_b32 v35, v1, v2
	v_cmp_eq_u32_e32 vcc, 0, v35
	v_cmp_ne_u64_e64 s[40:41], 0, v[0:1]
	v_mov_b32_e32 v4, v36
	s_and_b64 s[46:47], s[40:41], vcc
	ds_write2_b32 v14, v9, v9 offset0:5 offset1:6
	ds_write2_b32 v16, v9, v9 offset0:2 offset1:3
	s_waitcnt lgkmcnt(0)
	s_barrier
	s_waitcnt lgkmcnt(0)
	; wave barrier
	s_and_saveexec_b64 s[40:41], s[46:47]
	s_cbranch_execz .LBB39_8
; %bb.7:                                ;   in Loop: Header=BB39_6 Depth=2
	v_bcnt_u32_b32 v0, v0, 0
	v_bcnt_u32_b32 v0, v1, v0
	ds_write_b32 v34, v0
.LBB39_8:                               ;   in Loop: Header=BB39_6 Depth=2
	s_or_b64 exec, exec, s[40:41]
	v_bfe_u32 v0, v32, s44, 8
	v_mul_u32_u24_e32 v0, 5, v0
	v_add_lshl_u32 v0, v0, v19, 2
	v_bfe_u32 v8, v32, s44, 1
	; wave barrier
	v_add_u32_e32 v37, 20, v0
	ds_read_b32 v36, v0 offset:20
	v_lshl_add_u64 v[0:1], v[8:9], 0, -1
	v_cmp_ne_u32_e32 vcc, 0, v8
	v_lshrrev_b32_e32 v2, s44, v32
	s_nop 0
	v_xor_b32_e32 v1, vcc_hi, v1
	v_xor_b32_e32 v0, vcc_lo, v0
	v_and_b32_e32 v3, exec_hi, v1
	v_and_b32_e32 v8, exec_lo, v0
	v_lshlrev_b32_e32 v1, 30, v2
	v_mov_b32_e32 v0, v9
	v_cmp_gt_i64_e32 vcc, 0, v[0:1]
	v_not_b32_e32 v0, v1
	v_ashrrev_i32_e32 v0, 31, v0
	v_xor_b32_e32 v1, vcc_hi, v0
	v_xor_b32_e32 v0, vcc_lo, v0
	v_and_b32_e32 v3, v3, v1
	v_and_b32_e32 v8, v8, v0
	v_lshlrev_b32_e32 v1, 29, v2
	v_mov_b32_e32 v0, v9
	v_cmp_gt_i64_e32 vcc, 0, v[0:1]
	v_not_b32_e32 v0, v1
	v_ashrrev_i32_e32 v0, 31, v0
	v_xor_b32_e32 v1, vcc_hi, v0
	v_xor_b32_e32 v0, vcc_lo, v0
	v_and_b32_e32 v3, v3, v1
	v_and_b32_e32 v8, v8, v0
	;; [unrolled: 9-line block ×7, first 2 shown]
	v_mbcnt_lo_u32_b32 v2, v0, 0
	v_mbcnt_hi_u32_b32 v38, v1, v2
	v_cmp_eq_u32_e32 vcc, 0, v38
	v_cmp_ne_u64_e64 s[40:41], 0, v[0:1]
	s_and_b64 s[46:47], s[40:41], vcc
	; wave barrier
	s_and_saveexec_b64 s[40:41], s[46:47]
	s_cbranch_execz .LBB39_10
; %bb.9:                                ;   in Loop: Header=BB39_6 Depth=2
	v_bcnt_u32_b32 v0, v0, 0
	v_bcnt_u32_b32 v0, v1, v0
	s_waitcnt lgkmcnt(0)
	v_add_u32_e32 v0, v36, v0
	ds_write_b32 v37, v0
.LBB39_10:                              ;   in Loop: Header=BB39_6 Depth=2
	s_or_b64 exec, exec, s[40:41]
	v_bfe_u32 v0, v5, s44, 8
	v_mul_u32_u24_e32 v0, 5, v0
	v_add_lshl_u32 v0, v0, v19, 2
	v_bfe_u32 v8, v5, s44, 1
	; wave barrier
	v_add_u32_e32 v40, 20, v0
	ds_read_b32 v39, v0 offset:20
	v_lshl_add_u64 v[0:1], v[8:9], 0, -1
	v_cmp_ne_u32_e32 vcc, 0, v8
	v_lshrrev_b32_e32 v2, s44, v5
	s_nop 0
	v_xor_b32_e32 v1, vcc_hi, v1
	v_xor_b32_e32 v0, vcc_lo, v0
	v_and_b32_e32 v3, exec_hi, v1
	v_and_b32_e32 v8, exec_lo, v0
	v_lshlrev_b32_e32 v1, 30, v2
	v_mov_b32_e32 v0, v9
	v_cmp_gt_i64_e32 vcc, 0, v[0:1]
	v_not_b32_e32 v0, v1
	v_ashrrev_i32_e32 v0, 31, v0
	v_xor_b32_e32 v1, vcc_hi, v0
	v_xor_b32_e32 v0, vcc_lo, v0
	v_and_b32_e32 v3, v3, v1
	v_and_b32_e32 v8, v8, v0
	v_lshlrev_b32_e32 v1, 29, v2
	v_mov_b32_e32 v0, v9
	v_cmp_gt_i64_e32 vcc, 0, v[0:1]
	v_not_b32_e32 v0, v1
	v_ashrrev_i32_e32 v0, 31, v0
	v_xor_b32_e32 v1, vcc_hi, v0
	v_xor_b32_e32 v0, vcc_lo, v0
	v_and_b32_e32 v3, v3, v1
	v_and_b32_e32 v8, v8, v0
	;; [unrolled: 9-line block ×7, first 2 shown]
	v_mbcnt_lo_u32_b32 v2, v0, 0
	v_mbcnt_hi_u32_b32 v41, v1, v2
	v_cmp_eq_u32_e32 vcc, 0, v41
	v_cmp_ne_u64_e64 s[40:41], 0, v[0:1]
	s_and_b64 s[46:47], s[40:41], vcc
	; wave barrier
	s_and_saveexec_b64 s[40:41], s[46:47]
	s_cbranch_execz .LBB39_12
; %bb.11:                               ;   in Loop: Header=BB39_6 Depth=2
	v_bcnt_u32_b32 v0, v0, 0
	v_bcnt_u32_b32 v0, v1, v0
	s_waitcnt lgkmcnt(0)
	v_add_u32_e32 v0, v39, v0
	ds_write_b32 v40, v0
.LBB39_12:                              ;   in Loop: Header=BB39_6 Depth=2
	s_or_b64 exec, exec, s[40:41]
	v_bfe_u32 v0, v4, s44, 8
	v_mul_u32_u24_e32 v0, 5, v0
	v_add_lshl_u32 v0, v0, v19, 2
	v_bfe_u32 v8, v4, s44, 1
	; wave barrier
	v_add_u32_e32 v43, 20, v0
	ds_read_b32 v42, v0 offset:20
	v_lshl_add_u64 v[0:1], v[8:9], 0, -1
	v_cmp_ne_u32_e32 vcc, 0, v8
	v_lshrrev_b32_e32 v2, s44, v4
	s_nop 0
	v_xor_b32_e32 v1, vcc_hi, v1
	v_xor_b32_e32 v0, vcc_lo, v0
	v_and_b32_e32 v3, exec_hi, v1
	v_and_b32_e32 v8, exec_lo, v0
	v_lshlrev_b32_e32 v1, 30, v2
	v_mov_b32_e32 v0, v9
	v_cmp_gt_i64_e32 vcc, 0, v[0:1]
	v_not_b32_e32 v0, v1
	v_ashrrev_i32_e32 v0, 31, v0
	v_xor_b32_e32 v1, vcc_hi, v0
	v_xor_b32_e32 v0, vcc_lo, v0
	v_and_b32_e32 v3, v3, v1
	v_and_b32_e32 v8, v8, v0
	v_lshlrev_b32_e32 v1, 29, v2
	v_mov_b32_e32 v0, v9
	v_cmp_gt_i64_e32 vcc, 0, v[0:1]
	v_not_b32_e32 v0, v1
	v_ashrrev_i32_e32 v0, 31, v0
	v_xor_b32_e32 v1, vcc_hi, v0
	v_xor_b32_e32 v0, vcc_lo, v0
	v_and_b32_e32 v3, v3, v1
	v_and_b32_e32 v8, v8, v0
	;; [unrolled: 9-line block ×7, first 2 shown]
	v_mbcnt_lo_u32_b32 v2, v0, 0
	v_mbcnt_hi_u32_b32 v8, v1, v2
	v_cmp_eq_u32_e32 vcc, 0, v8
	v_cmp_ne_u64_e64 s[40:41], 0, v[0:1]
	s_and_b64 s[46:47], s[40:41], vcc
	; wave barrier
	s_and_saveexec_b64 s[40:41], s[46:47]
	s_cbranch_execz .LBB39_14
; %bb.13:                               ;   in Loop: Header=BB39_6 Depth=2
	v_bcnt_u32_b32 v0, v0, 0
	v_bcnt_u32_b32 v0, v1, v0
	s_waitcnt lgkmcnt(0)
	v_add_u32_e32 v0, v42, v0
	ds_write_b32 v43, v0
.LBB39_14:                              ;   in Loop: Header=BB39_6 Depth=2
	s_or_b64 exec, exec, s[40:41]
	; wave barrier
	s_waitcnt lgkmcnt(0)
	s_barrier
	ds_read2_b32 v[2:3], v14 offset0:5 offset1:6
	ds_read2_b32 v[0:1], v16 offset0:2 offset1:3
	s_waitcnt lgkmcnt(1)
	v_add_u32_e32 v44, v3, v2
	s_waitcnt lgkmcnt(0)
	v_add3_u32 v1, v44, v0, v1
	s_nop 1
	v_mov_b32_dpp v44, v1 row_shr:1 row_mask:0xf bank_mask:0xf
	v_cndmask_b32_e64 v44, v44, 0, s[8:9]
	v_add_u32_e32 v1, v44, v1
	s_nop 1
	v_mov_b32_dpp v44, v1 row_shr:2 row_mask:0xf bank_mask:0xf
	v_cndmask_b32_e64 v44, 0, v44, s[10:11]
	v_add_u32_e32 v1, v1, v44
	;; [unrolled: 4-line block ×4, first 2 shown]
	s_nop 1
	v_mov_b32_dpp v44, v1 row_bcast:15 row_mask:0xf bank_mask:0xf
	v_cndmask_b32_e64 v44, v44, 0, s[16:17]
	v_add_u32_e32 v1, v1, v44
	s_nop 1
	v_mov_b32_dpp v44, v1 row_bcast:31 row_mask:0xf bank_mask:0xf
	v_cndmask_b32_e64 v44, 0, v44, s[18:19]
	v_add_u32_e32 v1, v1, v44
	s_and_saveexec_b64 s[40:41], s[20:21]
	s_cbranch_execz .LBB39_16
; %bb.15:                               ;   in Loop: Header=BB39_6 Depth=2
	ds_write_b32 v21, v1
.LBB39_16:                              ;   in Loop: Header=BB39_6 Depth=2
	s_or_b64 exec, exec, s[40:41]
	s_waitcnt lgkmcnt(0)
	s_barrier
	s_and_saveexec_b64 s[40:41], s[22:23]
	s_cbranch_execz .LBB39_18
; %bb.17:                               ;   in Loop: Header=BB39_6 Depth=2
	ds_read_b32 v44, v22
	s_waitcnt lgkmcnt(0)
	s_nop 0
	v_mov_b32_dpp v45, v44 row_shr:1 row_mask:0xf bank_mask:0xf
	v_cndmask_b32_e64 v45, v45, 0, s[34:35]
	v_add_u32_e32 v44, v45, v44
	s_nop 1
	v_mov_b32_dpp v45, v44 row_shr:2 row_mask:0xf bank_mask:0xf
	v_cndmask_b32_e64 v45, 0, v45, s[36:37]
	v_add_u32_e32 v44, v44, v45
	;; [unrolled: 4-line block ×3, first 2 shown]
	ds_write_b32 v22, v44
.LBB39_18:                              ;   in Loop: Header=BB39_6 Depth=2
	s_or_b64 exec, exec, s[40:41]
	v_mov_b32_e32 v44, 0
	s_waitcnt lgkmcnt(0)
	s_barrier
	s_and_saveexec_b64 s[40:41], s[24:25]
	s_cbranch_execz .LBB39_20
; %bb.19:                               ;   in Loop: Header=BB39_6 Depth=2
	ds_read_b32 v44, v23
.LBB39_20:                              ;   in Loop: Header=BB39_6 Depth=2
	s_or_b64 exec, exec, s[40:41]
	s_waitcnt lgkmcnt(0)
	v_add_u32_e32 v1, v44, v1
	ds_bpermute_b32 v1, v20, v1
	s_cmp_gt_u32 s44, 23
	s_waitcnt lgkmcnt(0)
	v_cndmask_b32_e64 v1, v1, v44, s[26:27]
	v_cndmask_b32_e64 v1, v1, 0, s[28:29]
	v_add_u32_e32 v2, v1, v2
	v_add_u32_e32 v3, v2, v3
	;; [unrolled: 1-line block ×3, first 2 shown]
	ds_write2_b32 v14, v1, v2 offset0:5 offset1:6
	ds_write2_b32 v16, v3, v0 offset0:2 offset1:3
	s_waitcnt lgkmcnt(0)
	s_barrier
	ds_read_b32 v0, v34
	ds_read_b32 v1, v37
	;; [unrolled: 1-line block ×4, first 2 shown]
	s_waitcnt lgkmcnt(3)
	v_add_u32_e32 v3, v0, v35
	s_waitcnt lgkmcnt(2)
	v_add3_u32 v2, v38, v36, v1
	s_waitcnt lgkmcnt(1)
	v_add3_u32 v1, v41, v39, v34
	s_waitcnt lgkmcnt(0)
	v_add3_u32 v0, v8, v42, v37
	s_cbranch_scc0 .LBB39_5
; %bb.21:                               ;   in Loop: Header=BB39_2 Depth=1
                                        ; implicit-def: $vgpr36
                                        ; implicit-def: $vgpr35
                                        ; implicit-def: $vgpr34
                                        ; implicit-def: $vgpr8
                                        ; implicit-def: $sgpr44
.LBB39_22:                              ;   in Loop: Header=BB39_2 Depth=1
	v_lshrrev_b32_e32 v8, 3, v3
	v_and_b32_e32 v8, 0x1ffffffc, v8
	v_lshl_add_u32 v3, v3, 2, v8
	s_barrier
	ds_write_b32 v3, v33
	v_lshrrev_b32_e32 v3, 3, v2
	v_and_b32_e32 v3, 0x1ffffffc, v3
	v_lshl_add_u32 v2, v2, 2, v3
	ds_write_b32 v2, v32
	v_lshrrev_b32_e32 v2, 3, v1
	v_and_b32_e32 v2, 0x1ffffffc, v2
	v_lshl_add_u32 v1, v1, 2, v2
	;; [unrolled: 4-line block ×3, first 2 shown]
	ds_write_b32 v0, v4
	s_waitcnt lgkmcnt(0)
	s_barrier
	ds_read2_b32 v[0:1], v29 offset1:1
	ds_read2_b32 v[2:3], v29 offset0:2 offset1:3
	s_waitcnt lgkmcnt(0)
	s_barrier
	s_and_saveexec_b64 s[40:41], s[0:1]
	s_cbranch_execz .LBB39_24
; %bb.23:                               ;   in Loop: Header=BB39_2 Depth=1
	ds_write2st64_b32 v22, v31, v31 offset0:10 offset1:15
.LBB39_24:                              ;   in Loop: Header=BB39_2 Depth=1
	s_or_b64 exec, exec, s[40:41]
	v_xor_b32_e32 v5, 0x80000000, v3
	v_xor_b32_e32 v4, 0x80000000, v2
	v_cmp_ne_u32_e32 vcc, v2, v3
	v_mov_b32_e32 v2, v5
	s_waitcnt lgkmcnt(0)
	s_barrier
	ds_write_b32 v22, v5
	s_and_saveexec_b64 s[40:41], vcc
	s_cbranch_execz .LBB39_26
; %bb.25:                               ;   in Loop: Header=BB39_2 Depth=1
	v_lshlrev_b32_e32 v2, 2, v5
	v_lshlrev_b32_e32 v3, 2, v4
	ds_write_b32 v2, v18 offset:2560
	ds_write_b32 v3, v18 offset:3840
	v_mov_b32_e32 v2, v4
.LBB39_26:                              ;   in Loop: Header=BB39_2 Depth=1
	s_or_b64 exec, exec, s[40:41]
	v_xor_b32_e32 v3, 0x80000000, v1
	v_cmp_ne_u32_e32 vcc, v3, v2
	v_lshlrev_b32_e32 v8, 2, v3
	s_and_saveexec_b64 s[40:41], vcc
	s_cbranch_execz .LBB39_28
; %bb.27:                               ;   in Loop: Header=BB39_2 Depth=1
	v_lshlrev_b32_e32 v2, 2, v2
	ds_write_b32 v2, v17 offset:2560
	ds_write_b32 v8, v17 offset:3840
.LBB39_28:                              ;   in Loop: Header=BB39_2 Depth=1
	s_or_b64 exec, exec, s[40:41]
	v_xor_b32_e32 v2, 0x80000000, v0
	v_cmp_ne_u32_e32 vcc, v0, v1
	v_lshlrev_b32_e32 v0, 2, v2
	s_and_saveexec_b64 s[40:41], vcc
	s_cbranch_execz .LBB39_30
; %bb.29:                               ;   in Loop: Header=BB39_2 Depth=1
	ds_write_b32 v8, v15 offset:2560
	ds_write_b32 v0, v15 offset:3840
.LBB39_30:                              ;   in Loop: Header=BB39_2 Depth=1
	s_or_b64 exec, exec, s[40:41]
	s_waitcnt lgkmcnt(0)
	s_barrier
	s_and_saveexec_b64 s[40:41], s[30:31]
	s_cbranch_execz .LBB39_33
; %bb.31:                               ;   in Loop: Header=BB39_2 Depth=1
	ds_read_b32 v1, v30
	s_waitcnt lgkmcnt(0)
	v_cmp_ne_u32_e32 vcc, v1, v2
	s_and_b64 exec, exec, vcc
	s_cbranch_execz .LBB39_33
; %bb.32:                               ;   in Loop: Header=BB39_2 Depth=1
	ds_write_b32 v0, v13 offset:2560
	ds_read_b32 v1, v30
	s_waitcnt lgkmcnt(0)
	v_lshlrev_b32_e32 v1, 2, v1
	ds_write_b32 v1, v13 offset:3840
.LBB39_33:                              ;   in Loop: Header=BB39_2 Depth=1
	s_or_b64 exec, exec, s[40:41]
	s_waitcnt lgkmcnt(0)
	s_barrier
	s_and_saveexec_b64 s[40:41], s[28:29]
	s_cbranch_execz .LBB39_35
; %bb.34:                               ;   in Loop: Header=BB39_2 Depth=1
	ds_write_b32 v0, v9 offset:2560
.LBB39_35:                              ;   in Loop: Header=BB39_2 Depth=1
	s_or_b64 exec, exec, s[40:41]
	s_waitcnt lgkmcnt(0)
	s_barrier
	s_and_saveexec_b64 s[40:41], s[0:1]
	s_cbranch_execz .LBB39_1
; %bb.36:                               ;   in Loop: Header=BB39_2 Depth=1
	ds_read2st64_b32 v[0:1], v22 offset0:10 offset1:15
	ds_read_b32 v8, v24
	s_waitcnt lgkmcnt(1)
	v_sub_u32_e32 v0, v1, v0
	s_waitcnt lgkmcnt(0)
	v_add_u32_e32 v0, v0, v8
	ds_write_b32 v24, v0
	s_branch .LBB39_1
.LBB39_37:
	s_and_saveexec_b64 s[2:3], s[0:1]
	s_cbranch_execz .LBB39_39
; %bb.38:
	ds_read_b32 v2, v24
	v_mov_b32_e32 v0, s42
	v_mov_b32_e32 v1, s43
	;; [unrolled: 1-line block ×3, first 2 shown]
	v_lshl_add_u64 v[0:1], v[6:7], 2, v[0:1]
	s_waitcnt lgkmcnt(0)
	global_store_dword v[0:1], v2, off
.LBB39_39:
	s_endpgm
	.section	.rodata,"a",@progbits
	.p2align	6, 0x0
	.amdhsa_kernel _Z6kernelI9histogramILN6hipcub23BlockHistogramAlgorithmE1EEiLj320ELj4ELj320ELj100EEvPKT0_PS4_
		.amdhsa_group_segment_fixed_size 6560
		.amdhsa_private_segment_fixed_size 0
		.amdhsa_kernarg_size 272
		.amdhsa_user_sgpr_count 2
		.amdhsa_user_sgpr_dispatch_ptr 0
		.amdhsa_user_sgpr_queue_ptr 0
		.amdhsa_user_sgpr_kernarg_segment_ptr 1
		.amdhsa_user_sgpr_dispatch_id 0
		.amdhsa_user_sgpr_kernarg_preload_length 0
		.amdhsa_user_sgpr_kernarg_preload_offset 0
		.amdhsa_user_sgpr_private_segment_size 0
		.amdhsa_uses_dynamic_stack 0
		.amdhsa_enable_private_segment 0
		.amdhsa_system_sgpr_workgroup_id_x 1
		.amdhsa_system_sgpr_workgroup_id_y 0
		.amdhsa_system_sgpr_workgroup_id_z 0
		.amdhsa_system_sgpr_workgroup_info 0
		.amdhsa_system_vgpr_workitem_id 2
		.amdhsa_next_free_vgpr 46
		.amdhsa_next_free_sgpr 48
		.amdhsa_accum_offset 48
		.amdhsa_reserve_vcc 1
		.amdhsa_float_round_mode_32 0
		.amdhsa_float_round_mode_16_64 0
		.amdhsa_float_denorm_mode_32 3
		.amdhsa_float_denorm_mode_16_64 3
		.amdhsa_dx10_clamp 1
		.amdhsa_ieee_mode 1
		.amdhsa_fp16_overflow 0
		.amdhsa_tg_split 0
		.amdhsa_exception_fp_ieee_invalid_op 0
		.amdhsa_exception_fp_denorm_src 0
		.amdhsa_exception_fp_ieee_div_zero 0
		.amdhsa_exception_fp_ieee_overflow 0
		.amdhsa_exception_fp_ieee_underflow 0
		.amdhsa_exception_fp_ieee_inexact 0
		.amdhsa_exception_int_div_zero 0
	.end_amdhsa_kernel
	.section	.text._Z6kernelI9histogramILN6hipcub23BlockHistogramAlgorithmE1EEiLj320ELj4ELj320ELj100EEvPKT0_PS4_,"axG",@progbits,_Z6kernelI9histogramILN6hipcub23BlockHistogramAlgorithmE1EEiLj320ELj4ELj320ELj100EEvPKT0_PS4_,comdat
.Lfunc_end39:
	.size	_Z6kernelI9histogramILN6hipcub23BlockHistogramAlgorithmE1EEiLj320ELj4ELj320ELj100EEvPKT0_PS4_, .Lfunc_end39-_Z6kernelI9histogramILN6hipcub23BlockHistogramAlgorithmE1EEiLj320ELj4ELj320ELj100EEvPKT0_PS4_
                                        ; -- End function
	.section	.AMDGPU.csdata,"",@progbits
; Kernel info:
; codeLenInByte = 3784
; NumSgprs: 54
; NumVgprs: 46
; NumAgprs: 0
; TotalNumVgprs: 46
; ScratchSize: 0
; MemoryBound: 0
; FloatMode: 240
; IeeeMode: 1
; LDSByteSize: 6560 bytes/workgroup (compile time only)
; SGPRBlocks: 6
; VGPRBlocks: 5
; NumSGPRsForWavesPerEU: 54
; NumVGPRsForWavesPerEU: 46
; AccumOffset: 48
; Occupancy: 8
; WaveLimiterHint : 0
; COMPUTE_PGM_RSRC2:SCRATCH_EN: 0
; COMPUTE_PGM_RSRC2:USER_SGPR: 2
; COMPUTE_PGM_RSRC2:TRAP_HANDLER: 0
; COMPUTE_PGM_RSRC2:TGID_X_EN: 1
; COMPUTE_PGM_RSRC2:TGID_Y_EN: 0
; COMPUTE_PGM_RSRC2:TGID_Z_EN: 0
; COMPUTE_PGM_RSRC2:TIDIG_COMP_CNT: 2
; COMPUTE_PGM_RSRC3_GFX90A:ACCUM_OFFSET: 11
; COMPUTE_PGM_RSRC3_GFX90A:TG_SPLIT: 0
	.section	.text._Z6kernelI9histogramILN6hipcub23BlockHistogramAlgorithmE1EEiLj320ELj8ELj320ELj100EEvPKT0_PS4_,"axG",@progbits,_Z6kernelI9histogramILN6hipcub23BlockHistogramAlgorithmE1EEiLj320ELj8ELj320ELj100EEvPKT0_PS4_,comdat
	.protected	_Z6kernelI9histogramILN6hipcub23BlockHistogramAlgorithmE1EEiLj320ELj8ELj320ELj100EEvPKT0_PS4_ ; -- Begin function _Z6kernelI9histogramILN6hipcub23BlockHistogramAlgorithmE1EEiLj320ELj8ELj320ELj100EEvPKT0_PS4_
	.globl	_Z6kernelI9histogramILN6hipcub23BlockHistogramAlgorithmE1EEiLj320ELj8ELj320ELj100EEvPKT0_PS4_
	.p2align	8
	.type	_Z6kernelI9histogramILN6hipcub23BlockHistogramAlgorithmE1EEiLj320ELj8ELj320ELj100EEvPKT0_PS4_,@function
_Z6kernelI9histogramILN6hipcub23BlockHistogramAlgorithmE1EEiLj320ELj8ELj320ELj100EEvPKT0_PS4_: ; @_Z6kernelI9histogramILN6hipcub23BlockHistogramAlgorithmE1EEiLj320ELj8ELj320ELj100EEvPKT0_PS4_
; %bb.0:
	s_load_dwordx4 s[36:39], s[0:1], 0x0
	s_load_dword s3, s[0:1], 0x1c
	s_mulk_i32 s2, 0x140
	v_and_b32_e32 v14, 0x3ff, v0
	v_add_u32_e32 v10, s2, v14
	s_waitcnt lgkmcnt(0)
	v_mov_b32_e32 v2, s36
	v_mov_b32_e32 v3, s37
	v_lshlrev_b32_e32 v12, 3, v10
	v_mov_b32_e32 v13, 0
	v_lshl_add_u64 v[16:17], v[12:13], 2, v[2:3]
	global_load_dwordx4 v[6:9], v[16:17], off
	global_load_dwordx4 v[2:5], v[16:17], off offset:16
	v_mbcnt_lo_u32_b32 v1, -1, 0
	v_mbcnt_hi_u32_b32 v12, -1, v1
	v_and_b32_e32 v15, 0x1c0, v14
	v_add_u32_e32 v1, v12, v15
	v_lshlrev_b32_e32 v11, 3, v14
	v_and_b32_e32 v16, 0x3fc, v1
	s_movk_i32 s2, 0xe00
	v_lshl_add_u32 v16, v1, 5, v16
	v_and_or_b32 v1, v11, s2, v12
	v_add_u32_e32 v18, 64, v1
	v_or_b32_e32 v19, 0x80, v1
	v_add_u32_e32 v20, 0xc0, v1
	v_or_b32_e32 v21, 0x100, v1
	;; [unrolled: 2-line block ×3, first 2 shown]
	v_add_u32_e32 v24, 0x1c0, v1
	v_lshrrev_b32_e32 v17, 5, v1
	v_lshrrev_b32_e32 v18, 5, v18
	;; [unrolled: 1-line block ×8, first 2 shown]
	v_add_lshl_u32 v17, v17, v1, 2
	v_add_lshl_u32 v18, v18, v1, 2
	;; [unrolled: 1-line block ×8, first 2 shown]
	s_lshr_b32 s2, s3, 16
	v_bfe_u32 v1, v0, 10, 10
	v_bfe_u32 v0, v0, 20, 10
	s_and_b32 s3, s3, 0xffff
	v_mad_u32_u24 v0, v0, s2, v1
	v_mad_u64_u32 v[0:1], s[2:3], v0, s3, v[14:15]
	v_lshrrev_b32_e32 v27, 6, v0
	v_and_b32_e32 v0, 15, v12
	v_cmp_eq_u32_e64 s[2:3], 0, v0
	v_cmp_lt_u32_e64 s[4:5], 1, v0
	v_cmp_lt_u32_e64 s[6:7], 3, v0
	;; [unrolled: 1-line block ×3, first 2 shown]
	v_and_b32_e32 v0, 16, v12
	v_cmp_eq_u32_e64 s[10:11], 0, v0
	v_min_u32_e32 v0, 0x100, v15
	v_or_b32_e32 v0, 63, v0
	v_cmp_eq_u32_e64 s[14:15], v0, v14
	v_add_u32_e32 v0, -1, v12
	v_and_b32_e32 v1, 64, v12
	v_cmp_lt_i32_e32 vcc, v0, v1
	v_lshlrev_b32_e32 v25, 4, v14
	s_movk_i32 s0, 0x140
	v_cndmask_b32_e32 v0, v0, v12, vcc
	v_lshlrev_b32_e32 v29, 2, v0
	v_lshrrev_b32_e32 v0, 4, v14
	v_and_b32_e32 v30, 28, v0
	v_and_b32_e32 v0, 7, v12
	v_cmp_eq_u32_e64 s[26:27], 0, v0
	v_cmp_lt_u32_e64 s[28:29], 1, v0
	v_cmp_lt_u32_e64 s[30:31], 3, v0
	v_lshrrev_b32_e32 v0, 2, v14
	v_mad_i32_i24 v31, v14, -12, v25
	v_add_lshl_u32 v33, v0, v11, 2
	v_mov_b32_e32 v0, 0x2940
	v_cmp_gt_u32_e64 s[0:1], s0, v14
	s_mov_b32 s33, 0
	v_add_u32_e32 v26, 20, v25
	v_cmp_lt_u32_e64 s[12:13], 31, v12
	v_cmp_gt_u32_e64 s[16:17], 5, v14
	v_cmp_lt_u32_e64 s[18:19], 63, v14
	v_cmp_eq_u32_e64 s[20:21], 0, v12
	v_cmp_eq_u32_e64 s[22:23], 0, v14
	v_cmp_ne_u32_e64 s[24:25], 0, v14
	v_add_u32_e32 v32, -4, v30
	v_lshl_add_u32 v28, v14, 2, v0
	v_or_b32_e32 v34, 7, v11
	v_or_b32_e32 v35, 6, v11
	;; [unrolled: 1-line block ×7, first 2 shown]
	v_add_u32_e32 v41, -4, v31
	v_mov_b32_e32 v42, 0xa00
	s_branch .LBB40_2
.LBB40_1:                               ;   in Loop: Header=BB40_2 Depth=1
	s_or_b64 exec, exec, s[34:35]
	s_add_i32 s33, s33, 1
	s_cmpk_lg_i32 s33, 0x64
	s_cbranch_scc0 .LBB40_53
.LBB40_2:                               ; =>This Loop Header: Depth=1
                                        ;     Child Loop BB40_6 Depth 2
	s_and_saveexec_b64 s[34:35], s[0:1]
	s_cbranch_execz .LBB40_4
; %bb.3:                                ;   in Loop: Header=BB40_2 Depth=1
	ds_write_b32 v28, v13
.LBB40_4:                               ;   in Loop: Header=BB40_2 Depth=1
	s_or_b64 exec, exec, s[34:35]
	s_waitcnt vmcnt(1)
	v_xor_b32_e32 v0, 0x80000000, v7
	v_xor_b32_e32 v1, 0x80000000, v6
	s_waitcnt lgkmcnt(0)
	s_barrier
	ds_write2_b32 v16, v1, v0 offset1:1
	v_xor_b32_e32 v0, 0x80000000, v9
	v_xor_b32_e32 v1, 0x80000000, v8
	ds_write2_b32 v16, v1, v0 offset0:2 offset1:3
	s_waitcnt vmcnt(0)
	v_xor_b32_e32 v0, 0x80000000, v3
	v_xor_b32_e32 v1, 0x80000000, v2
	ds_write2_b32 v16, v1, v0 offset0:4 offset1:5
	v_xor_b32_e32 v0, 0x80000000, v5
	v_xor_b32_e32 v1, 0x80000000, v4
	ds_write2_b32 v16, v1, v0 offset0:6 offset1:7
	; wave barrier
	ds_read_b32 v12, v17
	ds_read_b32 v47, v18 offset:256
	ds_read_b32 v48, v19 offset:512
	;; [unrolled: 1-line block ×7, first 2 shown]
	s_mov_b32 s36, 0
	s_waitcnt lgkmcnt(0)
	s_barrier
	s_waitcnt lgkmcnt(0)
	; wave barrier
	s_barrier
	s_branch .LBB40_6
.LBB40_5:                               ;   in Loop: Header=BB40_6 Depth=2
	v_lshrrev_b32_e32 v12, 3, v46
	v_and_b32_e32 v12, 0x1ffffffc, v12
	v_lshl_add_u32 v12, v46, 2, v12
	s_barrier
	ds_write_b32 v12, v15
	v_lshrrev_b32_e32 v12, 3, v45
	v_and_b32_e32 v12, 0x1ffffffc, v12
	v_lshl_add_u32 v12, v45, 2, v12
	ds_write_b32 v12, v14
	v_lshrrev_b32_e32 v12, 3, v44
	v_and_b32_e32 v12, 0x1ffffffc, v12
	v_lshl_add_u32 v12, v44, 2, v12
	;; [unrolled: 4-line block ×7, first 2 shown]
	ds_write_b32 v12, v4
	s_waitcnt lgkmcnt(0)
	s_barrier
	ds_read_b32 v12, v17
	ds_read_b32 v47, v18 offset:256
	ds_read_b32 v48, v19 offset:512
	;; [unrolled: 1-line block ×7, first 2 shown]
	s_add_i32 s36, s36, 8
	s_waitcnt lgkmcnt(0)
	s_barrier
	s_cbranch_execz .LBB40_30
.LBB40_6:                               ;   Parent Loop BB40_2 Depth=1
                                        ; =>  This Inner Loop Header: Depth=2
	v_mov_b32_e32 v15, v12
	v_bfe_u32 v0, v15, s36, 8
	v_mad_u32_u24 v0, v0, 5, v27
	v_bfe_u32 v12, v15, s36, 1
	v_lshl_add_u32 v43, v0, 2, 20
	v_lshl_add_u64 v[0:1], v[12:13], 0, -1
	v_cmp_ne_u32_e32 vcc, 0, v12
	v_lshrrev_b32_e32 v2, s36, v15
	v_mov_b32_e32 v4, v53
	v_xor_b32_e32 v1, vcc_hi, v1
	v_xor_b32_e32 v0, vcc_lo, v0
	v_and_b32_e32 v3, exec_hi, v1
	v_and_b32_e32 v12, exec_lo, v0
	v_lshlrev_b32_e32 v1, 30, v2
	v_mov_b32_e32 v0, v13
	v_cmp_gt_i64_e32 vcc, 0, v[0:1]
	v_not_b32_e32 v0, v1
	v_ashrrev_i32_e32 v0, 31, v0
	v_xor_b32_e32 v1, vcc_hi, v0
	v_xor_b32_e32 v0, vcc_lo, v0
	v_and_b32_e32 v3, v3, v1
	v_and_b32_e32 v12, v12, v0
	v_lshlrev_b32_e32 v1, 29, v2
	v_mov_b32_e32 v0, v13
	v_cmp_gt_i64_e32 vcc, 0, v[0:1]
	v_not_b32_e32 v0, v1
	v_ashrrev_i32_e32 v0, 31, v0
	v_xor_b32_e32 v1, vcc_hi, v0
	v_xor_b32_e32 v0, vcc_lo, v0
	v_and_b32_e32 v3, v3, v1
	v_and_b32_e32 v12, v12, v0
	;; [unrolled: 9-line block ×7, first 2 shown]
	v_mbcnt_lo_u32_b32 v2, v0, 0
	v_mbcnt_hi_u32_b32 v44, v1, v2
	v_cmp_eq_u32_e32 vcc, 0, v44
	v_cmp_ne_u64_e64 s[34:35], 0, v[0:1]
	v_mov_b32_e32 v5, v52
	v_mov_b32_e32 v6, v51
	;; [unrolled: 1-line block ×6, first 2 shown]
	s_and_b64 s[40:41], s[34:35], vcc
	ds_write2_b32 v25, v13, v13 offset0:5 offset1:6
	ds_write2_b32 v26, v13, v13 offset0:2 offset1:3
	s_waitcnt lgkmcnt(0)
	s_barrier
	s_waitcnt lgkmcnt(0)
	; wave barrier
	s_and_saveexec_b64 s[34:35], s[40:41]
	s_cbranch_execz .LBB40_8
; %bb.7:                                ;   in Loop: Header=BB40_6 Depth=2
	v_bcnt_u32_b32 v0, v0, 0
	v_bcnt_u32_b32 v0, v1, v0
	ds_write_b32 v43, v0
.LBB40_8:                               ;   in Loop: Header=BB40_6 Depth=2
	s_or_b64 exec, exec, s[34:35]
	v_bfe_u32 v0, v14, s36, 8
	v_mul_u32_u24_e32 v0, 5, v0
	v_add_lshl_u32 v0, v0, v27, 2
	v_bfe_u32 v12, v14, s36, 1
	; wave barrier
	v_add_u32_e32 v46, 20, v0
	ds_read_b32 v45, v0 offset:20
	v_lshl_add_u64 v[0:1], v[12:13], 0, -1
	v_cmp_ne_u32_e32 vcc, 0, v12
	v_lshrrev_b32_e32 v2, s36, v14
	s_nop 0
	v_xor_b32_e32 v1, vcc_hi, v1
	v_xor_b32_e32 v0, vcc_lo, v0
	v_and_b32_e32 v3, exec_hi, v1
	v_and_b32_e32 v12, exec_lo, v0
	v_lshlrev_b32_e32 v1, 30, v2
	v_mov_b32_e32 v0, v13
	v_cmp_gt_i64_e32 vcc, 0, v[0:1]
	v_not_b32_e32 v0, v1
	v_ashrrev_i32_e32 v0, 31, v0
	v_xor_b32_e32 v1, vcc_hi, v0
	v_xor_b32_e32 v0, vcc_lo, v0
	v_and_b32_e32 v3, v3, v1
	v_and_b32_e32 v12, v12, v0
	v_lshlrev_b32_e32 v1, 29, v2
	v_mov_b32_e32 v0, v13
	v_cmp_gt_i64_e32 vcc, 0, v[0:1]
	v_not_b32_e32 v0, v1
	v_ashrrev_i32_e32 v0, 31, v0
	v_xor_b32_e32 v1, vcc_hi, v0
	v_xor_b32_e32 v0, vcc_lo, v0
	v_and_b32_e32 v3, v3, v1
	v_and_b32_e32 v12, v12, v0
	;; [unrolled: 9-line block ×7, first 2 shown]
	v_mbcnt_lo_u32_b32 v2, v0, 0
	v_mbcnt_hi_u32_b32 v47, v1, v2
	v_cmp_eq_u32_e32 vcc, 0, v47
	v_cmp_ne_u64_e64 s[34:35], 0, v[0:1]
	s_and_b64 s[40:41], s[34:35], vcc
	; wave barrier
	s_and_saveexec_b64 s[34:35], s[40:41]
	s_cbranch_execz .LBB40_10
; %bb.9:                                ;   in Loop: Header=BB40_6 Depth=2
	v_bcnt_u32_b32 v0, v0, 0
	v_bcnt_u32_b32 v0, v1, v0
	s_waitcnt lgkmcnt(0)
	v_add_u32_e32 v0, v45, v0
	ds_write_b32 v46, v0
.LBB40_10:                              ;   in Loop: Header=BB40_6 Depth=2
	s_or_b64 exec, exec, s[34:35]
	v_bfe_u32 v0, v9, s36, 8
	v_mul_u32_u24_e32 v0, 5, v0
	v_add_lshl_u32 v0, v0, v27, 2
	v_bfe_u32 v12, v9, s36, 1
	; wave barrier
	v_add_u32_e32 v49, 20, v0
	ds_read_b32 v48, v0 offset:20
	v_lshl_add_u64 v[0:1], v[12:13], 0, -1
	v_cmp_ne_u32_e32 vcc, 0, v12
	v_lshrrev_b32_e32 v2, s36, v9
	s_nop 0
	v_xor_b32_e32 v1, vcc_hi, v1
	v_xor_b32_e32 v0, vcc_lo, v0
	v_and_b32_e32 v3, exec_hi, v1
	v_and_b32_e32 v12, exec_lo, v0
	v_lshlrev_b32_e32 v1, 30, v2
	v_mov_b32_e32 v0, v13
	v_cmp_gt_i64_e32 vcc, 0, v[0:1]
	v_not_b32_e32 v0, v1
	v_ashrrev_i32_e32 v0, 31, v0
	v_xor_b32_e32 v1, vcc_hi, v0
	v_xor_b32_e32 v0, vcc_lo, v0
	v_and_b32_e32 v3, v3, v1
	v_and_b32_e32 v12, v12, v0
	v_lshlrev_b32_e32 v1, 29, v2
	v_mov_b32_e32 v0, v13
	v_cmp_gt_i64_e32 vcc, 0, v[0:1]
	v_not_b32_e32 v0, v1
	v_ashrrev_i32_e32 v0, 31, v0
	v_xor_b32_e32 v1, vcc_hi, v0
	v_xor_b32_e32 v0, vcc_lo, v0
	v_and_b32_e32 v3, v3, v1
	v_and_b32_e32 v12, v12, v0
	;; [unrolled: 9-line block ×7, first 2 shown]
	v_mbcnt_lo_u32_b32 v2, v0, 0
	v_mbcnt_hi_u32_b32 v50, v1, v2
	v_cmp_eq_u32_e32 vcc, 0, v50
	v_cmp_ne_u64_e64 s[34:35], 0, v[0:1]
	s_and_b64 s[40:41], s[34:35], vcc
	; wave barrier
	s_and_saveexec_b64 s[34:35], s[40:41]
	s_cbranch_execz .LBB40_12
; %bb.11:                               ;   in Loop: Header=BB40_6 Depth=2
	v_bcnt_u32_b32 v0, v0, 0
	v_bcnt_u32_b32 v0, v1, v0
	s_waitcnt lgkmcnt(0)
	v_add_u32_e32 v0, v48, v0
	ds_write_b32 v49, v0
.LBB40_12:                              ;   in Loop: Header=BB40_6 Depth=2
	s_or_b64 exec, exec, s[34:35]
	v_bfe_u32 v0, v8, s36, 8
	v_mul_u32_u24_e32 v0, 5, v0
	v_add_lshl_u32 v0, v0, v27, 2
	v_bfe_u32 v12, v8, s36, 1
	; wave barrier
	v_add_u32_e32 v52, 20, v0
	ds_read_b32 v51, v0 offset:20
	v_lshl_add_u64 v[0:1], v[12:13], 0, -1
	v_cmp_ne_u32_e32 vcc, 0, v12
	v_lshrrev_b32_e32 v2, s36, v8
	s_nop 0
	v_xor_b32_e32 v1, vcc_hi, v1
	v_xor_b32_e32 v0, vcc_lo, v0
	v_and_b32_e32 v3, exec_hi, v1
	v_and_b32_e32 v12, exec_lo, v0
	v_lshlrev_b32_e32 v1, 30, v2
	v_mov_b32_e32 v0, v13
	v_cmp_gt_i64_e32 vcc, 0, v[0:1]
	v_not_b32_e32 v0, v1
	v_ashrrev_i32_e32 v0, 31, v0
	v_xor_b32_e32 v1, vcc_hi, v0
	v_xor_b32_e32 v0, vcc_lo, v0
	v_and_b32_e32 v3, v3, v1
	v_and_b32_e32 v12, v12, v0
	v_lshlrev_b32_e32 v1, 29, v2
	v_mov_b32_e32 v0, v13
	v_cmp_gt_i64_e32 vcc, 0, v[0:1]
	v_not_b32_e32 v0, v1
	v_ashrrev_i32_e32 v0, 31, v0
	v_xor_b32_e32 v1, vcc_hi, v0
	v_xor_b32_e32 v0, vcc_lo, v0
	v_and_b32_e32 v3, v3, v1
	v_and_b32_e32 v12, v12, v0
	;; [unrolled: 9-line block ×7, first 2 shown]
	v_mbcnt_lo_u32_b32 v2, v0, 0
	v_mbcnt_hi_u32_b32 v53, v1, v2
	v_cmp_eq_u32_e32 vcc, 0, v53
	v_cmp_ne_u64_e64 s[34:35], 0, v[0:1]
	s_and_b64 s[40:41], s[34:35], vcc
	; wave barrier
	s_and_saveexec_b64 s[34:35], s[40:41]
	s_cbranch_execz .LBB40_14
; %bb.13:                               ;   in Loop: Header=BB40_6 Depth=2
	v_bcnt_u32_b32 v0, v0, 0
	v_bcnt_u32_b32 v0, v1, v0
	s_waitcnt lgkmcnt(0)
	v_add_u32_e32 v0, v51, v0
	ds_write_b32 v52, v0
.LBB40_14:                              ;   in Loop: Header=BB40_6 Depth=2
	s_or_b64 exec, exec, s[34:35]
	v_bfe_u32 v0, v7, s36, 8
	v_mul_u32_u24_e32 v0, 5, v0
	v_add_lshl_u32 v0, v0, v27, 2
	v_bfe_u32 v12, v7, s36, 1
	; wave barrier
	v_add_u32_e32 v55, 20, v0
	ds_read_b32 v54, v0 offset:20
	v_lshl_add_u64 v[0:1], v[12:13], 0, -1
	v_cmp_ne_u32_e32 vcc, 0, v12
	v_lshrrev_b32_e32 v2, s36, v7
	s_nop 0
	v_xor_b32_e32 v1, vcc_hi, v1
	v_xor_b32_e32 v0, vcc_lo, v0
	v_and_b32_e32 v3, exec_hi, v1
	v_and_b32_e32 v12, exec_lo, v0
	v_lshlrev_b32_e32 v1, 30, v2
	v_mov_b32_e32 v0, v13
	v_cmp_gt_i64_e32 vcc, 0, v[0:1]
	v_not_b32_e32 v0, v1
	v_ashrrev_i32_e32 v0, 31, v0
	v_xor_b32_e32 v1, vcc_hi, v0
	v_xor_b32_e32 v0, vcc_lo, v0
	v_and_b32_e32 v3, v3, v1
	v_and_b32_e32 v12, v12, v0
	v_lshlrev_b32_e32 v1, 29, v2
	v_mov_b32_e32 v0, v13
	v_cmp_gt_i64_e32 vcc, 0, v[0:1]
	v_not_b32_e32 v0, v1
	v_ashrrev_i32_e32 v0, 31, v0
	v_xor_b32_e32 v1, vcc_hi, v0
	v_xor_b32_e32 v0, vcc_lo, v0
	v_and_b32_e32 v3, v3, v1
	v_and_b32_e32 v12, v12, v0
	v_lshlrev_b32_e32 v1, 28, v2
	v_mov_b32_e32 v0, v13
	v_cmp_gt_i64_e32 vcc, 0, v[0:1]
	v_not_b32_e32 v0, v1
	v_ashrrev_i32_e32 v0, 31, v0
	v_xor_b32_e32 v1, vcc_hi, v0
	v_xor_b32_e32 v0, vcc_lo, v0
	v_and_b32_e32 v3, v3, v1
	v_and_b32_e32 v12, v12, v0
	v_lshlrev_b32_e32 v1, 27, v2
	v_mov_b32_e32 v0, v13
	v_cmp_gt_i64_e32 vcc, 0, v[0:1]
	v_not_b32_e32 v0, v1
	v_ashrrev_i32_e32 v0, 31, v0
	v_xor_b32_e32 v1, vcc_hi, v0
	v_xor_b32_e32 v0, vcc_lo, v0
	v_and_b32_e32 v3, v3, v1
	v_and_b32_e32 v12, v12, v0
	v_lshlrev_b32_e32 v1, 26, v2
	v_mov_b32_e32 v0, v13
	v_cmp_gt_i64_e32 vcc, 0, v[0:1]
	v_not_b32_e32 v0, v1
	v_ashrrev_i32_e32 v0, 31, v0
	v_xor_b32_e32 v1, vcc_hi, v0
	v_xor_b32_e32 v0, vcc_lo, v0
	v_and_b32_e32 v3, v3, v1
	v_and_b32_e32 v12, v12, v0
	v_lshlrev_b32_e32 v1, 25, v2
	v_mov_b32_e32 v0, v13
	v_cmp_gt_i64_e32 vcc, 0, v[0:1]
	v_not_b32_e32 v0, v1
	v_ashrrev_i32_e32 v0, 31, v0
	v_xor_b32_e32 v1, vcc_hi, v0
	v_xor_b32_e32 v0, vcc_lo, v0
	v_and_b32_e32 v3, v3, v1
	v_and_b32_e32 v12, v12, v0
	v_lshlrev_b32_e32 v1, 24, v2
	v_mov_b32_e32 v0, v13
	v_cmp_gt_i64_e32 vcc, 0, v[0:1]
	v_not_b32_e32 v0, v1
	v_ashrrev_i32_e32 v0, 31, v0
	v_xor_b32_e32 v1, vcc_hi, v0
	v_xor_b32_e32 v0, vcc_lo, v0
	v_and_b32_e32 v0, v12, v0
	v_and_b32_e32 v1, v3, v1
	v_mbcnt_lo_u32_b32 v2, v0, 0
	v_mbcnt_hi_u32_b32 v56, v1, v2
	v_cmp_eq_u32_e32 vcc, 0, v56
	v_cmp_ne_u64_e64 s[34:35], 0, v[0:1]
	s_and_b64 s[40:41], s[34:35], vcc
	; wave barrier
	s_and_saveexec_b64 s[34:35], s[40:41]
	s_cbranch_execz .LBB40_16
; %bb.15:                               ;   in Loop: Header=BB40_6 Depth=2
	v_bcnt_u32_b32 v0, v0, 0
	v_bcnt_u32_b32 v0, v1, v0
	s_waitcnt lgkmcnt(0)
	v_add_u32_e32 v0, v54, v0
	ds_write_b32 v55, v0
.LBB40_16:                              ;   in Loop: Header=BB40_6 Depth=2
	s_or_b64 exec, exec, s[34:35]
	v_bfe_u32 v0, v6, s36, 8
	v_mul_u32_u24_e32 v0, 5, v0
	v_add_lshl_u32 v0, v0, v27, 2
	v_bfe_u32 v12, v6, s36, 1
	; wave barrier
	v_add_u32_e32 v58, 20, v0
	ds_read_b32 v57, v0 offset:20
	v_lshl_add_u64 v[0:1], v[12:13], 0, -1
	v_cmp_ne_u32_e32 vcc, 0, v12
	v_lshrrev_b32_e32 v2, s36, v6
	s_nop 0
	v_xor_b32_e32 v1, vcc_hi, v1
	v_xor_b32_e32 v0, vcc_lo, v0
	v_and_b32_e32 v3, exec_hi, v1
	v_and_b32_e32 v12, exec_lo, v0
	v_lshlrev_b32_e32 v1, 30, v2
	v_mov_b32_e32 v0, v13
	v_cmp_gt_i64_e32 vcc, 0, v[0:1]
	v_not_b32_e32 v0, v1
	v_ashrrev_i32_e32 v0, 31, v0
	v_xor_b32_e32 v1, vcc_hi, v0
	v_xor_b32_e32 v0, vcc_lo, v0
	v_and_b32_e32 v3, v3, v1
	v_and_b32_e32 v12, v12, v0
	v_lshlrev_b32_e32 v1, 29, v2
	v_mov_b32_e32 v0, v13
	v_cmp_gt_i64_e32 vcc, 0, v[0:1]
	v_not_b32_e32 v0, v1
	v_ashrrev_i32_e32 v0, 31, v0
	v_xor_b32_e32 v1, vcc_hi, v0
	v_xor_b32_e32 v0, vcc_lo, v0
	v_and_b32_e32 v3, v3, v1
	v_and_b32_e32 v12, v12, v0
	;; [unrolled: 9-line block ×7, first 2 shown]
	v_mbcnt_lo_u32_b32 v2, v0, 0
	v_mbcnt_hi_u32_b32 v59, v1, v2
	v_cmp_eq_u32_e32 vcc, 0, v59
	v_cmp_ne_u64_e64 s[34:35], 0, v[0:1]
	s_and_b64 s[40:41], s[34:35], vcc
	; wave barrier
	s_and_saveexec_b64 s[34:35], s[40:41]
	s_cbranch_execz .LBB40_18
; %bb.17:                               ;   in Loop: Header=BB40_6 Depth=2
	v_bcnt_u32_b32 v0, v0, 0
	v_bcnt_u32_b32 v0, v1, v0
	s_waitcnt lgkmcnt(0)
	v_add_u32_e32 v0, v57, v0
	ds_write_b32 v58, v0
.LBB40_18:                              ;   in Loop: Header=BB40_6 Depth=2
	s_or_b64 exec, exec, s[34:35]
	v_bfe_u32 v0, v5, s36, 8
	v_mul_u32_u24_e32 v0, 5, v0
	v_add_lshl_u32 v0, v0, v27, 2
	v_bfe_u32 v12, v5, s36, 1
	; wave barrier
	v_add_u32_e32 v61, 20, v0
	ds_read_b32 v60, v0 offset:20
	v_lshl_add_u64 v[0:1], v[12:13], 0, -1
	v_cmp_ne_u32_e32 vcc, 0, v12
	v_lshrrev_b32_e32 v2, s36, v5
	s_nop 0
	v_xor_b32_e32 v1, vcc_hi, v1
	v_xor_b32_e32 v0, vcc_lo, v0
	v_and_b32_e32 v3, exec_hi, v1
	v_and_b32_e32 v12, exec_lo, v0
	v_lshlrev_b32_e32 v1, 30, v2
	v_mov_b32_e32 v0, v13
	v_cmp_gt_i64_e32 vcc, 0, v[0:1]
	v_not_b32_e32 v0, v1
	v_ashrrev_i32_e32 v0, 31, v0
	v_xor_b32_e32 v1, vcc_hi, v0
	v_xor_b32_e32 v0, vcc_lo, v0
	v_and_b32_e32 v3, v3, v1
	v_and_b32_e32 v12, v12, v0
	v_lshlrev_b32_e32 v1, 29, v2
	v_mov_b32_e32 v0, v13
	v_cmp_gt_i64_e32 vcc, 0, v[0:1]
	v_not_b32_e32 v0, v1
	v_ashrrev_i32_e32 v0, 31, v0
	v_xor_b32_e32 v1, vcc_hi, v0
	v_xor_b32_e32 v0, vcc_lo, v0
	v_and_b32_e32 v3, v3, v1
	v_and_b32_e32 v12, v12, v0
	;; [unrolled: 9-line block ×7, first 2 shown]
	v_mbcnt_lo_u32_b32 v2, v0, 0
	v_mbcnt_hi_u32_b32 v62, v1, v2
	v_cmp_eq_u32_e32 vcc, 0, v62
	v_cmp_ne_u64_e64 s[34:35], 0, v[0:1]
	s_and_b64 s[40:41], s[34:35], vcc
	; wave barrier
	s_and_saveexec_b64 s[34:35], s[40:41]
	s_cbranch_execz .LBB40_20
; %bb.19:                               ;   in Loop: Header=BB40_6 Depth=2
	v_bcnt_u32_b32 v0, v0, 0
	v_bcnt_u32_b32 v0, v1, v0
	s_waitcnt lgkmcnt(0)
	v_add_u32_e32 v0, v60, v0
	ds_write_b32 v61, v0
.LBB40_20:                              ;   in Loop: Header=BB40_6 Depth=2
	s_or_b64 exec, exec, s[34:35]
	v_bfe_u32 v0, v4, s36, 8
	v_mul_u32_u24_e32 v0, 5, v0
	v_add_lshl_u32 v0, v0, v27, 2
	v_bfe_u32 v12, v4, s36, 1
	; wave barrier
	v_add_u32_e32 v64, 20, v0
	ds_read_b32 v63, v0 offset:20
	v_lshl_add_u64 v[0:1], v[12:13], 0, -1
	v_cmp_ne_u32_e32 vcc, 0, v12
	v_lshrrev_b32_e32 v2, s36, v4
	s_nop 0
	v_xor_b32_e32 v1, vcc_hi, v1
	v_xor_b32_e32 v0, vcc_lo, v0
	v_and_b32_e32 v3, exec_hi, v1
	v_and_b32_e32 v12, exec_lo, v0
	v_lshlrev_b32_e32 v1, 30, v2
	v_mov_b32_e32 v0, v13
	v_cmp_gt_i64_e32 vcc, 0, v[0:1]
	v_not_b32_e32 v0, v1
	v_ashrrev_i32_e32 v0, 31, v0
	v_xor_b32_e32 v1, vcc_hi, v0
	v_xor_b32_e32 v0, vcc_lo, v0
	v_and_b32_e32 v3, v3, v1
	v_and_b32_e32 v12, v12, v0
	v_lshlrev_b32_e32 v1, 29, v2
	v_mov_b32_e32 v0, v13
	v_cmp_gt_i64_e32 vcc, 0, v[0:1]
	v_not_b32_e32 v0, v1
	v_ashrrev_i32_e32 v0, 31, v0
	v_xor_b32_e32 v1, vcc_hi, v0
	v_xor_b32_e32 v0, vcc_lo, v0
	v_and_b32_e32 v3, v3, v1
	v_and_b32_e32 v12, v12, v0
	v_lshlrev_b32_e32 v1, 28, v2
	v_mov_b32_e32 v0, v13
	v_cmp_gt_i64_e32 vcc, 0, v[0:1]
	v_not_b32_e32 v0, v1
	v_ashrrev_i32_e32 v0, 31, v0
	v_xor_b32_e32 v1, vcc_hi, v0
	v_xor_b32_e32 v0, vcc_lo, v0
	v_and_b32_e32 v3, v3, v1
	v_and_b32_e32 v12, v12, v0
	v_lshlrev_b32_e32 v1, 27, v2
	v_mov_b32_e32 v0, v13
	v_cmp_gt_i64_e32 vcc, 0, v[0:1]
	v_not_b32_e32 v0, v1
	v_ashrrev_i32_e32 v0, 31, v0
	v_xor_b32_e32 v1, vcc_hi, v0
	v_xor_b32_e32 v0, vcc_lo, v0
	v_and_b32_e32 v3, v3, v1
	v_and_b32_e32 v12, v12, v0
	v_lshlrev_b32_e32 v1, 26, v2
	v_mov_b32_e32 v0, v13
	v_cmp_gt_i64_e32 vcc, 0, v[0:1]
	v_not_b32_e32 v0, v1
	v_ashrrev_i32_e32 v0, 31, v0
	v_xor_b32_e32 v1, vcc_hi, v0
	v_xor_b32_e32 v0, vcc_lo, v0
	v_and_b32_e32 v3, v3, v1
	v_and_b32_e32 v12, v12, v0
	v_lshlrev_b32_e32 v1, 25, v2
	v_mov_b32_e32 v0, v13
	v_cmp_gt_i64_e32 vcc, 0, v[0:1]
	v_not_b32_e32 v0, v1
	v_ashrrev_i32_e32 v0, 31, v0
	v_xor_b32_e32 v1, vcc_hi, v0
	v_xor_b32_e32 v0, vcc_lo, v0
	v_and_b32_e32 v3, v3, v1
	v_and_b32_e32 v12, v12, v0
	v_lshlrev_b32_e32 v1, 24, v2
	v_mov_b32_e32 v0, v13
	v_cmp_gt_i64_e32 vcc, 0, v[0:1]
	v_not_b32_e32 v0, v1
	v_ashrrev_i32_e32 v0, 31, v0
	v_xor_b32_e32 v1, vcc_hi, v0
	v_xor_b32_e32 v0, vcc_lo, v0
	v_and_b32_e32 v0, v12, v0
	v_and_b32_e32 v1, v3, v1
	v_mbcnt_lo_u32_b32 v2, v0, 0
	v_mbcnt_hi_u32_b32 v12, v1, v2
	v_cmp_eq_u32_e32 vcc, 0, v12
	v_cmp_ne_u64_e64 s[34:35], 0, v[0:1]
	s_and_b64 s[40:41], s[34:35], vcc
	; wave barrier
	s_and_saveexec_b64 s[34:35], s[40:41]
	s_cbranch_execz .LBB40_22
; %bb.21:                               ;   in Loop: Header=BB40_6 Depth=2
	v_bcnt_u32_b32 v0, v0, 0
	v_bcnt_u32_b32 v0, v1, v0
	s_waitcnt lgkmcnt(0)
	v_add_u32_e32 v0, v63, v0
	ds_write_b32 v64, v0
.LBB40_22:                              ;   in Loop: Header=BB40_6 Depth=2
	s_or_b64 exec, exec, s[34:35]
	; wave barrier
	s_waitcnt lgkmcnt(0)
	s_barrier
	ds_read2_b32 v[2:3], v25 offset0:5 offset1:6
	ds_read2_b32 v[0:1], v26 offset0:2 offset1:3
	s_waitcnt lgkmcnt(1)
	v_add_u32_e32 v65, v3, v2
	s_waitcnt lgkmcnt(0)
	v_add3_u32 v1, v65, v0, v1
	s_nop 1
	v_mov_b32_dpp v65, v1 row_shr:1 row_mask:0xf bank_mask:0xf
	v_cndmask_b32_e64 v65, v65, 0, s[2:3]
	v_add_u32_e32 v1, v65, v1
	s_nop 1
	v_mov_b32_dpp v65, v1 row_shr:2 row_mask:0xf bank_mask:0xf
	v_cndmask_b32_e64 v65, 0, v65, s[4:5]
	v_add_u32_e32 v1, v1, v65
	;; [unrolled: 4-line block ×4, first 2 shown]
	s_nop 1
	v_mov_b32_dpp v65, v1 row_bcast:15 row_mask:0xf bank_mask:0xf
	v_cndmask_b32_e64 v65, v65, 0, s[10:11]
	v_add_u32_e32 v1, v1, v65
	s_nop 1
	v_mov_b32_dpp v65, v1 row_bcast:31 row_mask:0xf bank_mask:0xf
	v_cndmask_b32_e64 v65, 0, v65, s[12:13]
	v_add_u32_e32 v1, v1, v65
	s_and_saveexec_b64 s[34:35], s[14:15]
	s_cbranch_execz .LBB40_24
; %bb.23:                               ;   in Loop: Header=BB40_6 Depth=2
	ds_write_b32 v30, v1
.LBB40_24:                              ;   in Loop: Header=BB40_6 Depth=2
	s_or_b64 exec, exec, s[34:35]
	s_waitcnt lgkmcnt(0)
	s_barrier
	s_and_saveexec_b64 s[34:35], s[16:17]
	s_cbranch_execz .LBB40_26
; %bb.25:                               ;   in Loop: Header=BB40_6 Depth=2
	ds_read_b32 v65, v31
	s_waitcnt lgkmcnt(0)
	s_nop 0
	v_mov_b32_dpp v66, v65 row_shr:1 row_mask:0xf bank_mask:0xf
	v_cndmask_b32_e64 v66, v66, 0, s[26:27]
	v_add_u32_e32 v65, v66, v65
	s_nop 1
	v_mov_b32_dpp v66, v65 row_shr:2 row_mask:0xf bank_mask:0xf
	v_cndmask_b32_e64 v66, 0, v66, s[28:29]
	v_add_u32_e32 v65, v65, v66
	;; [unrolled: 4-line block ×3, first 2 shown]
	ds_write_b32 v31, v65
.LBB40_26:                              ;   in Loop: Header=BB40_6 Depth=2
	s_or_b64 exec, exec, s[34:35]
	v_mov_b32_e32 v65, 0
	s_waitcnt lgkmcnt(0)
	s_barrier
	s_and_saveexec_b64 s[34:35], s[18:19]
	s_cbranch_execz .LBB40_28
; %bb.27:                               ;   in Loop: Header=BB40_6 Depth=2
	ds_read_b32 v65, v32
.LBB40_28:                              ;   in Loop: Header=BB40_6 Depth=2
	s_or_b64 exec, exec, s[34:35]
	s_waitcnt lgkmcnt(0)
	v_add_u32_e32 v1, v65, v1
	ds_bpermute_b32 v1, v29, v1
	s_cmp_gt_u32 s36, 23
	s_waitcnt lgkmcnt(0)
	v_cndmask_b32_e64 v1, v1, v65, s[20:21]
	v_cndmask_b32_e64 v1, v1, 0, s[22:23]
	v_add_u32_e32 v2, v1, v2
	v_add_u32_e32 v3, v2, v3
	;; [unrolled: 1-line block ×3, first 2 shown]
	ds_write2_b32 v25, v1, v2 offset0:5 offset1:6
	ds_write2_b32 v26, v3, v0 offset0:2 offset1:3
	s_waitcnt lgkmcnt(0)
	s_barrier
	ds_read_b32 v0, v43
	ds_read_b32 v1, v46
	;; [unrolled: 1-line block ×8, first 2 shown]
	s_waitcnt lgkmcnt(7)
	v_add_u32_e32 v46, v0, v44
	s_waitcnt lgkmcnt(6)
	v_add3_u32 v45, v47, v45, v1
	s_waitcnt lgkmcnt(5)
	v_add3_u32 v44, v50, v48, v2
	;; [unrolled: 2-line block ×7, first 2 shown]
	s_cbranch_scc0 .LBB40_5
; %bb.29:                               ;   in Loop: Header=BB40_2 Depth=1
                                        ; implicit-def: $vgpr53
                                        ; implicit-def: $vgpr52
                                        ; implicit-def: $vgpr51
                                        ; implicit-def: $vgpr50
                                        ; implicit-def: $vgpr49
                                        ; implicit-def: $vgpr48
                                        ; implicit-def: $vgpr47
                                        ; implicit-def: $vgpr12
                                        ; implicit-def: $sgpr36
.LBB40_30:                              ;   in Loop: Header=BB40_2 Depth=1
	v_lshrrev_b32_e32 v12, 3, v46
	v_and_b32_e32 v12, 0x1ffffffc, v12
	v_lshl_add_u32 v12, v46, 2, v12
	s_barrier
	ds_write_b32 v12, v15
	v_lshrrev_b32_e32 v12, 3, v45
	v_and_b32_e32 v12, 0x1ffffffc, v12
	v_lshl_add_u32 v12, v45, 2, v12
	ds_write_b32 v12, v14
	v_lshrrev_b32_e32 v12, 3, v44
	v_and_b32_e32 v12, 0x1ffffffc, v12
	v_lshl_add_u32 v12, v44, 2, v12
	;; [unrolled: 4-line block ×7, first 2 shown]
	ds_write_b32 v0, v4
	s_waitcnt lgkmcnt(0)
	s_barrier
	ds_read2_b32 v[0:1], v33 offset1:1
	ds_read2_b32 v[14:15], v33 offset0:2 offset1:3
	ds_read2_b32 v[6:7], v33 offset0:4 offset1:5
	;; [unrolled: 1-line block ×3, first 2 shown]
	s_waitcnt lgkmcnt(0)
	s_barrier
	s_and_saveexec_b64 s[34:35], s[0:1]
	s_cbranch_execz .LBB40_32
; %bb.31:                               ;   in Loop: Header=BB40_2 Depth=1
	ds_write2st64_b32 v31, v42, v42 offset0:10 offset1:15
.LBB40_32:                              ;   in Loop: Header=BB40_2 Depth=1
	s_or_b64 exec, exec, s[34:35]
	v_xor_b32_e32 v5, 0x80000000, v3
	v_xor_b32_e32 v4, 0x80000000, v2
	v_cmp_ne_u32_e32 vcc, v2, v3
	v_mov_b32_e32 v2, v5
	s_waitcnt lgkmcnt(0)
	s_barrier
	ds_write_b32 v31, v5
	s_and_saveexec_b64 s[34:35], vcc
	s_cbranch_execz .LBB40_34
; %bb.33:                               ;   in Loop: Header=BB40_2 Depth=1
	v_lshlrev_b32_e32 v2, 2, v5
	v_lshlrev_b32_e32 v3, 2, v4
	ds_write_b32 v2, v34 offset:2560
	ds_write_b32 v3, v34 offset:3840
	v_mov_b32_e32 v2, v4
.LBB40_34:                              ;   in Loop: Header=BB40_2 Depth=1
	s_or_b64 exec, exec, s[34:35]
	v_xor_b32_e32 v3, 0x80000000, v7
	v_cmp_ne_u32_e32 vcc, v3, v2
	v_lshlrev_b32_e32 v8, 2, v3
	s_and_saveexec_b64 s[34:35], vcc
	s_cbranch_execz .LBB40_36
; %bb.35:                               ;   in Loop: Header=BB40_2 Depth=1
	v_lshlrev_b32_e32 v2, 2, v2
	ds_write_b32 v2, v35 offset:2560
	ds_write_b32 v8, v35 offset:3840
.LBB40_36:                              ;   in Loop: Header=BB40_2 Depth=1
	s_or_b64 exec, exec, s[34:35]
	v_xor_b32_e32 v2, 0x80000000, v6
	v_cmp_ne_u32_e32 vcc, v6, v7
	v_lshlrev_b32_e32 v7, 2, v2
	s_and_saveexec_b64 s[34:35], vcc
	s_cbranch_execz .LBB40_38
; %bb.37:                               ;   in Loop: Header=BB40_2 Depth=1
	ds_write_b32 v8, v36 offset:2560
	ds_write_b32 v7, v36 offset:3840
.LBB40_38:                              ;   in Loop: Header=BB40_2 Depth=1
	s_or_b64 exec, exec, s[34:35]
	v_xor_b32_e32 v9, 0x80000000, v15
	v_xor_b32_e32 v8, 0x80000000, v14
	v_cmp_ne_u32_e32 vcc, v15, v6
	v_lshlrev_b32_e32 v6, 2, v9
	s_and_saveexec_b64 s[34:35], vcc
	s_cbranch_execz .LBB40_40
; %bb.39:                               ;   in Loop: Header=BB40_2 Depth=1
	ds_write_b32 v7, v37 offset:2560
	ds_write_b32 v6, v37 offset:3840
.LBB40_40:                              ;   in Loop: Header=BB40_2 Depth=1
	s_or_b64 exec, exec, s[34:35]
	v_cmp_ne_u32_e32 vcc, v14, v15
	v_lshlrev_b32_e32 v12, 2, v8
	s_and_saveexec_b64 s[34:35], vcc
	s_cbranch_execz .LBB40_42
; %bb.41:                               ;   in Loop: Header=BB40_2 Depth=1
	ds_write_b32 v6, v38 offset:2560
	ds_write_b32 v12, v38 offset:3840
.LBB40_42:                              ;   in Loop: Header=BB40_2 Depth=1
	s_or_b64 exec, exec, s[34:35]
	v_xor_b32_e32 v7, 0x80000000, v1
	v_xor_b32_e32 v6, 0x80000000, v0
	v_cmp_ne_u32_e32 vcc, v1, v14
	v_lshlrev_b32_e32 v14, 2, v7
	s_and_saveexec_b64 s[34:35], vcc
	s_cbranch_execz .LBB40_44
; %bb.43:                               ;   in Loop: Header=BB40_2 Depth=1
	ds_write_b32 v12, v39 offset:2560
	ds_write_b32 v14, v39 offset:3840
.LBB40_44:                              ;   in Loop: Header=BB40_2 Depth=1
	s_or_b64 exec, exec, s[34:35]
	v_cmp_ne_u32_e32 vcc, v0, v1
	v_lshlrev_b32_e32 v0, 2, v6
	s_and_saveexec_b64 s[34:35], vcc
	s_cbranch_execz .LBB40_46
; %bb.45:                               ;   in Loop: Header=BB40_2 Depth=1
	ds_write_b32 v14, v40 offset:2560
	ds_write_b32 v0, v40 offset:3840
.LBB40_46:                              ;   in Loop: Header=BB40_2 Depth=1
	s_or_b64 exec, exec, s[34:35]
	s_waitcnt lgkmcnt(0)
	s_barrier
	s_and_saveexec_b64 s[34:35], s[24:25]
	s_cbranch_execz .LBB40_49
; %bb.47:                               ;   in Loop: Header=BB40_2 Depth=1
	ds_read_b32 v1, v41
	s_waitcnt lgkmcnt(0)
	v_cmp_ne_u32_e32 vcc, v1, v6
	s_and_b64 exec, exec, vcc
	s_cbranch_execz .LBB40_49
; %bb.48:                               ;   in Loop: Header=BB40_2 Depth=1
	ds_write_b32 v0, v11 offset:2560
	ds_read_b32 v1, v41
	s_waitcnt lgkmcnt(0)
	v_lshlrev_b32_e32 v1, 2, v1
	ds_write_b32 v1, v11 offset:3840
.LBB40_49:                              ;   in Loop: Header=BB40_2 Depth=1
	s_or_b64 exec, exec, s[34:35]
	s_waitcnt lgkmcnt(0)
	s_barrier
	s_and_saveexec_b64 s[34:35], s[22:23]
	s_cbranch_execz .LBB40_51
; %bb.50:                               ;   in Loop: Header=BB40_2 Depth=1
	ds_write_b32 v0, v13 offset:2560
.LBB40_51:                              ;   in Loop: Header=BB40_2 Depth=1
	s_or_b64 exec, exec, s[34:35]
	s_waitcnt lgkmcnt(0)
	s_barrier
	s_and_saveexec_b64 s[34:35], s[0:1]
	s_cbranch_execz .LBB40_1
; %bb.52:                               ;   in Loop: Header=BB40_2 Depth=1
	ds_read2st64_b32 v[0:1], v31 offset0:10 offset1:15
	ds_read_b32 v12, v28
	s_waitcnt lgkmcnt(1)
	v_sub_u32_e32 v0, v1, v0
	s_waitcnt lgkmcnt(0)
	v_add_u32_e32 v0, v0, v12
	ds_write_b32 v28, v0
	s_branch .LBB40_1
.LBB40_53:
	s_and_saveexec_b64 s[2:3], s[0:1]
	s_cbranch_execz .LBB40_55
; %bb.54:
	ds_read_b32 v2, v28
	v_mov_b32_e32 v0, s38
	v_mov_b32_e32 v1, s39
	;; [unrolled: 1-line block ×3, first 2 shown]
	v_lshl_add_u64 v[0:1], v[10:11], 2, v[0:1]
	s_waitcnt lgkmcnt(0)
	global_store_dword v[0:1], v2, off
.LBB40_55:
	s_endpgm
	.section	.rodata,"a",@progbits
	.p2align	6, 0x0
	.amdhsa_kernel _Z6kernelI9histogramILN6hipcub23BlockHistogramAlgorithmE1EEiLj320ELj8ELj320ELj100EEvPKT0_PS4_
		.amdhsa_group_segment_fixed_size 11840
		.amdhsa_private_segment_fixed_size 0
		.amdhsa_kernarg_size 272
		.amdhsa_user_sgpr_count 2
		.amdhsa_user_sgpr_dispatch_ptr 0
		.amdhsa_user_sgpr_queue_ptr 0
		.amdhsa_user_sgpr_kernarg_segment_ptr 1
		.amdhsa_user_sgpr_dispatch_id 0
		.amdhsa_user_sgpr_kernarg_preload_length 0
		.amdhsa_user_sgpr_kernarg_preload_offset 0
		.amdhsa_user_sgpr_private_segment_size 0
		.amdhsa_uses_dynamic_stack 0
		.amdhsa_enable_private_segment 0
		.amdhsa_system_sgpr_workgroup_id_x 1
		.amdhsa_system_sgpr_workgroup_id_y 0
		.amdhsa_system_sgpr_workgroup_id_z 0
		.amdhsa_system_sgpr_workgroup_info 0
		.amdhsa_system_vgpr_workitem_id 2
		.amdhsa_next_free_vgpr 67
		.amdhsa_next_free_sgpr 42
		.amdhsa_accum_offset 68
		.amdhsa_reserve_vcc 1
		.amdhsa_float_round_mode_32 0
		.amdhsa_float_round_mode_16_64 0
		.amdhsa_float_denorm_mode_32 3
		.amdhsa_float_denorm_mode_16_64 3
		.amdhsa_dx10_clamp 1
		.amdhsa_ieee_mode 1
		.amdhsa_fp16_overflow 0
		.amdhsa_tg_split 0
		.amdhsa_exception_fp_ieee_invalid_op 0
		.amdhsa_exception_fp_denorm_src 0
		.amdhsa_exception_fp_ieee_div_zero 0
		.amdhsa_exception_fp_ieee_overflow 0
		.amdhsa_exception_fp_ieee_underflow 0
		.amdhsa_exception_fp_ieee_inexact 0
		.amdhsa_exception_int_div_zero 0
	.end_amdhsa_kernel
	.section	.text._Z6kernelI9histogramILN6hipcub23BlockHistogramAlgorithmE1EEiLj320ELj8ELj320ELj100EEvPKT0_PS4_,"axG",@progbits,_Z6kernelI9histogramILN6hipcub23BlockHistogramAlgorithmE1EEiLj320ELj8ELj320ELj100EEvPKT0_PS4_,comdat
.Lfunc_end40:
	.size	_Z6kernelI9histogramILN6hipcub23BlockHistogramAlgorithmE1EEiLj320ELj8ELj320ELj100EEvPKT0_PS4_, .Lfunc_end40-_Z6kernelI9histogramILN6hipcub23BlockHistogramAlgorithmE1EEiLj320ELj8ELj320ELj100EEvPKT0_PS4_
                                        ; -- End function
	.section	.AMDGPU.csdata,"",@progbits
; Kernel info:
; codeLenInByte = 5884
; NumSgprs: 48
; NumVgprs: 67
; NumAgprs: 0
; TotalNumVgprs: 67
; ScratchSize: 0
; MemoryBound: 0
; FloatMode: 240
; IeeeMode: 1
; LDSByteSize: 11840 bytes/workgroup (compile time only)
; SGPRBlocks: 5
; VGPRBlocks: 8
; NumSGPRsForWavesPerEU: 48
; NumVGPRsForWavesPerEU: 67
; AccumOffset: 68
; Occupancy: 7
; WaveLimiterHint : 0
; COMPUTE_PGM_RSRC2:SCRATCH_EN: 0
; COMPUTE_PGM_RSRC2:USER_SGPR: 2
; COMPUTE_PGM_RSRC2:TRAP_HANDLER: 0
; COMPUTE_PGM_RSRC2:TGID_X_EN: 1
; COMPUTE_PGM_RSRC2:TGID_Y_EN: 0
; COMPUTE_PGM_RSRC2:TGID_Z_EN: 0
; COMPUTE_PGM_RSRC2:TIDIG_COMP_CNT: 2
; COMPUTE_PGM_RSRC3_GFX90A:ACCUM_OFFSET: 16
; COMPUTE_PGM_RSRC3_GFX90A:TG_SPLIT: 0
	.section	.text._Z6kernelI9histogramILN6hipcub23BlockHistogramAlgorithmE1EEiLj320ELj16ELj320ELj100EEvPKT0_PS4_,"axG",@progbits,_Z6kernelI9histogramILN6hipcub23BlockHistogramAlgorithmE1EEiLj320ELj16ELj320ELj100EEvPKT0_PS4_,comdat
	.protected	_Z6kernelI9histogramILN6hipcub23BlockHistogramAlgorithmE1EEiLj320ELj16ELj320ELj100EEvPKT0_PS4_ ; -- Begin function _Z6kernelI9histogramILN6hipcub23BlockHistogramAlgorithmE1EEiLj320ELj16ELj320ELj100EEvPKT0_PS4_
	.globl	_Z6kernelI9histogramILN6hipcub23BlockHistogramAlgorithmE1EEiLj320ELj16ELj320ELj100EEvPKT0_PS4_
	.p2align	8
	.type	_Z6kernelI9histogramILN6hipcub23BlockHistogramAlgorithmE1EEiLj320ELj16ELj320ELj100EEvPKT0_PS4_,@function
_Z6kernelI9histogramILN6hipcub23BlockHistogramAlgorithmE1EEiLj320ELj16ELj320ELj100EEvPKT0_PS4_: ; @_Z6kernelI9histogramILN6hipcub23BlockHistogramAlgorithmE1EEiLj320ELj16ELj320ELj100EEvPKT0_PS4_
; %bb.0:
	s_load_dwordx4 s[36:39], s[0:1], 0x0
	s_load_dword s3, s[0:1], 0x1c
	s_mulk_i32 s2, 0x140
	v_and_b32_e32 v46, 0x3ff, v0
	v_add_u32_e32 v2, s2, v46
	s_waitcnt lgkmcnt(0)
	v_mov_b32_e32 v6, s36
	v_mov_b32_e32 v7, s37
	v_lshlrev_b32_e32 v4, 4, v2
	v_mov_b32_e32 v5, 0
	v_lshl_add_u64 v[6:7], v[4:5], 2, v[6:7]
	global_load_dwordx4 v[16:19], v[6:7], off offset:48
	global_load_dwordx4 v[12:15], v[6:7], off offset:32
	;; [unrolled: 1-line block ×3, first 2 shown]
	global_load_dwordx4 v[62:65], v[6:7], off
	v_mbcnt_lo_u32_b32 v1, -1, 0
	v_mbcnt_hi_u32_b32 v4, -1, v1
	v_and_b32_e32 v6, 0x1c0, v46
	v_add_u32_e32 v1, v4, v6
	v_lshlrev_b32_e32 v7, 1, v1
	v_lshlrev_b32_e32 v3, 4, v46
	v_and_b32_e32 v7, 0x7fc, v7
	s_movk_i32 s2, 0x1c00
	v_lshl_add_u32 v20, v1, 6, v7
	v_and_or_b32 v1, v3, s2, v4
	v_lshrrev_b32_e32 v7, 5, v1
	v_add_lshl_u32 v21, v7, v1, 2
	v_add_u32_e32 v7, 64, v1
	v_lshrrev_b32_e32 v7, 5, v7
	v_add_lshl_u32 v22, v7, v1, 2
	v_or_b32_e32 v7, 0x80, v1
	v_lshrrev_b32_e32 v7, 5, v7
	v_add_lshl_u32 v23, v7, v1, 2
	v_add_u32_e32 v7, 0xc0, v1
	v_lshrrev_b32_e32 v7, 5, v7
	v_add_lshl_u32 v24, v7, v1, 2
	v_or_b32_e32 v7, 0x100, v1
	v_lshrrev_b32_e32 v7, 5, v7
	v_add_lshl_u32 v25, v7, v1, 2
	v_add_u32_e32 v7, 0x140, v1
	v_lshrrev_b32_e32 v7, 5, v7
	v_add_lshl_u32 v26, v7, v1, 2
	v_or_b32_e32 v7, 0x180, v1
	v_lshrrev_b32_e32 v7, 5, v7
	v_add_lshl_u32 v27, v7, v1, 2
	v_add_u32_e32 v7, 0x1c0, v1
	v_lshrrev_b32_e32 v7, 5, v7
	v_add_lshl_u32 v28, v7, v1, 2
	v_or_b32_e32 v7, 0x200, v1
	v_lshrrev_b32_e32 v7, 5, v7
	v_add_lshl_u32 v29, v7, v1, 2
	v_add_u32_e32 v7, 0x240, v1
	v_lshrrev_b32_e32 v7, 5, v7
	v_add_lshl_u32 v30, v7, v1, 2
	v_or_b32_e32 v7, 0x280, v1
	v_lshrrev_b32_e32 v7, 5, v7
	v_add_lshl_u32 v31, v7, v1, 2
	v_add_u32_e32 v7, 0x2c0, v1
	v_lshrrev_b32_e32 v7, 5, v7
	v_add_lshl_u32 v32, v7, v1, 2
	v_or_b32_e32 v7, 0x300, v1
	v_lshrrev_b32_e32 v7, 5, v7
	v_add_lshl_u32 v33, v7, v1, 2
	v_add_u32_e32 v7, 0x340, v1
	v_lshrrev_b32_e32 v7, 5, v7
	v_add_lshl_u32 v34, v7, v1, 2
	v_or_b32_e32 v7, 0x380, v1
	v_lshrrev_b32_e32 v7, 5, v7
	v_add_lshl_u32 v35, v7, v1, 2
	v_add_u32_e32 v7, 0x3c0, v1
	v_lshrrev_b32_e32 v7, 5, v7
	v_add_lshl_u32 v36, v7, v1, 2
	s_lshr_b32 s2, s3, 16
	v_bfe_u32 v1, v0, 10, 10
	v_bfe_u32 v0, v0, 20, 10
	s_and_b32 s3, s3, 0xffff
	v_mad_u32_u24 v0, v0, s2, v1
	v_mad_u64_u32 v[0:1], s[2:3], v0, s3, v[46:47]
	v_lshrrev_b32_e32 v38, 6, v0
	v_and_b32_e32 v0, 15, v4
	v_cmp_eq_u32_e64 s[2:3], 0, v0
	v_cmp_lt_u32_e64 s[4:5], 1, v0
	v_cmp_lt_u32_e64 s[6:7], 3, v0
	;; [unrolled: 1-line block ×3, first 2 shown]
	v_and_b32_e32 v0, 16, v4
	v_cmp_eq_u32_e64 s[10:11], 0, v0
	v_min_u32_e32 v0, 0x100, v6
	v_or_b32_e32 v0, 63, v0
	v_cmp_eq_u32_e64 s[14:15], v0, v46
	v_add_u32_e32 v0, -1, v4
	v_and_b32_e32 v1, 64, v4
	v_cmp_lt_i32_e32 vcc, v0, v1
	s_movk_i32 s0, 0x140
	v_mad_i32_i24 v42, v46, -12, v3
	v_cndmask_b32_e32 v0, v0, v4, vcc
	v_lshlrev_b32_e32 v40, 2, v0
	v_lshrrev_b32_e32 v0, 4, v46
	v_and_b32_e32 v41, 28, v0
	v_and_b32_e32 v0, 7, v4
	v_cmp_eq_u32_e64 s[26:27], 0, v0
	v_cmp_lt_u32_e64 s[28:29], 1, v0
	v_cmp_lt_u32_e64 s[30:31], 3, v0
	v_lshrrev_b32_e32 v0, 1, v46
	v_add_lshl_u32 v44, v0, v3, 2
	v_mov_b32_e32 v0, 0x5280
	v_cmp_gt_u32_e64 s[0:1], s0, v46
	s_mov_b32 s33, 0
	v_add_u32_e32 v37, 20, v3
	v_cmp_lt_u32_e64 s[12:13], 31, v4
	v_cmp_gt_u32_e64 s[16:17], 5, v46
	v_cmp_lt_u32_e64 s[18:19], 63, v46
	v_cmp_eq_u32_e64 s[20:21], 0, v4
	v_cmp_eq_u32_e64 s[22:23], 0, v46
	v_cmp_ne_u32_e64 s[24:25], 0, v46
	v_add_u32_e32 v43, -4, v41
	v_lshl_add_u32 v39, v46, 2, v0
	v_or_b32_e32 v45, 15, v3
	v_or_b32_e32 v46, 14, v3
	;; [unrolled: 1-line block ×15, first 2 shown]
	v_add_u32_e32 v60, -4, v42
	s_waitcnt vmcnt(0)
	v_xor_b32_e32 v1, 0x80000000, v63
	v_xor_b32_e32 v0, 0x80000000, v62
	;; [unrolled: 1-line block ×16, first 2 shown]
	v_mov_b32_e32 v61, 0x1400
	s_branch .LBB41_2
.LBB41_1:                               ;   in Loop: Header=BB41_2 Depth=1
	s_or_b64 exec, exec, s[34:35]
	s_add_i32 s33, s33, 1
	s_cmpk_lg_i32 s33, 0x64
	s_cbranch_scc0 .LBB41_85
.LBB41_2:                               ; =>This Loop Header: Depth=1
                                        ;     Child Loop BB41_6 Depth 2
	s_and_saveexec_b64 s[34:35], s[0:1]
	s_cbranch_execz .LBB41_4
; %bb.3:                                ;   in Loop: Header=BB41_2 Depth=1
	ds_write_b32 v39, v5
.LBB41_4:                               ;   in Loop: Header=BB41_2 Depth=1
	s_or_b64 exec, exec, s[34:35]
	s_waitcnt lgkmcnt(0)
	s_barrier
	ds_write2_b32 v20, v0, v1 offset1:1
	ds_write2_b32 v20, v6, v7 offset0:2 offset1:3
	ds_write2_b32 v20, v8, v9 offset0:4 offset1:5
	;; [unrolled: 1-line block ×7, first 2 shown]
	; wave barrier
	ds_read_b32 v74, v21
	ds_read_b32 v76, v22 offset:256
	ds_read_b32 v77, v23 offset:512
	;; [unrolled: 1-line block ×15, first 2 shown]
	s_mov_b32 s36, 0
	s_waitcnt lgkmcnt(0)
	s_barrier
	s_waitcnt lgkmcnt(0)
	; wave barrier
	s_barrier
	s_branch .LBB41_6
.LBB41_5:                               ;   in Loop: Header=BB41_6 Depth=2
	v_lshrrev_b32_e32 v74, 3, v81
	v_and_b32_e32 v74, 0x1ffffffc, v74
	v_lshl_add_u32 v74, v81, 2, v74
	s_barrier
	ds_write_b32 v74, v65
	v_lshrrev_b32_e32 v74, 3, v78
	v_and_b32_e32 v74, 0x1ffffffc, v74
	v_lshl_add_u32 v74, v78, 2, v74
	ds_write_b32 v74, v64
	v_lshrrev_b32_e32 v74, 3, v75
	v_and_b32_e32 v74, 0x1ffffffc, v74
	v_lshl_add_u32 v74, v75, 2, v74
	;; [unrolled: 4-line block ×15, first 2 shown]
	ds_write_b32 v74, v8
	s_waitcnt lgkmcnt(0)
	s_barrier
	ds_read_b32 v74, v21
	ds_read_b32 v76, v22 offset:256
	ds_read_b32 v77, v23 offset:512
	;; [unrolled: 1-line block ×15, first 2 shown]
	s_add_i32 s36, s36, 8
	s_waitcnt lgkmcnt(0)
	s_barrier
	s_cbranch_execz .LBB41_46
.LBB41_6:                               ;   Parent Loop BB41_2 Depth=1
                                        ; =>  This Inner Loop Header: Depth=2
	v_mov_b32_e32 v65, v74
	v_bfe_u32 v0, v65, s36, 8
	v_mad_u32_u24 v0, v0, 5, v38
	v_bfe_u32 v4, v65, s36, 1
	v_lshl_add_u32 v66, v0, 2, 20
	v_lshl_add_u64 v[0:1], v[4:5], 0, -1
	v_cmp_ne_u32_e32 vcc, 0, v4
	v_lshrrev_b32_e32 v6, s36, v65
	v_mov_b32_e32 v64, v76
	v_xor_b32_e32 v1, vcc_hi, v1
	v_xor_b32_e32 v0, vcc_lo, v0
	v_and_b32_e32 v4, exec_hi, v1
	v_and_b32_e32 v7, exec_lo, v0
	v_lshlrev_b32_e32 v1, 30, v6
	v_mov_b32_e32 v0, v5
	v_cmp_gt_i64_e32 vcc, 0, v[0:1]
	v_not_b32_e32 v0, v1
	v_ashrrev_i32_e32 v0, 31, v0
	v_xor_b32_e32 v1, vcc_hi, v0
	v_xor_b32_e32 v0, vcc_lo, v0
	v_and_b32_e32 v4, v4, v1
	v_and_b32_e32 v7, v7, v0
	v_lshlrev_b32_e32 v1, 29, v6
	v_mov_b32_e32 v0, v5
	v_cmp_gt_i64_e32 vcc, 0, v[0:1]
	v_not_b32_e32 v0, v1
	v_ashrrev_i32_e32 v0, 31, v0
	v_xor_b32_e32 v1, vcc_hi, v0
	v_xor_b32_e32 v0, vcc_lo, v0
	v_and_b32_e32 v4, v4, v1
	v_and_b32_e32 v7, v7, v0
	;; [unrolled: 9-line block ×7, first 2 shown]
	v_mbcnt_lo_u32_b32 v4, v0, 0
	v_mbcnt_hi_u32_b32 v67, v1, v4
	v_cmp_eq_u32_e32 vcc, 0, v67
	v_cmp_ne_u64_e64 s[34:35], 0, v[0:1]
	v_mov_b32_e32 v63, v77
	v_mov_b32_e32 v62, v79
	;; [unrolled: 1-line block ×14, first 2 shown]
	s_and_b64 s[40:41], s[34:35], vcc
	ds_write2_b32 v3, v5, v5 offset0:5 offset1:6
	ds_write2_b32 v37, v5, v5 offset0:2 offset1:3
	s_waitcnt lgkmcnt(0)
	s_barrier
	s_waitcnt lgkmcnt(0)
	; wave barrier
	s_and_saveexec_b64 s[34:35], s[40:41]
	s_cbranch_execz .LBB41_8
; %bb.7:                                ;   in Loop: Header=BB41_6 Depth=2
	v_bcnt_u32_b32 v0, v0, 0
	v_bcnt_u32_b32 v0, v1, v0
	ds_write_b32 v66, v0
.LBB41_8:                               ;   in Loop: Header=BB41_6 Depth=2
	s_or_b64 exec, exec, s[34:35]
	v_bfe_u32 v0, v64, s36, 8
	v_mul_u32_u24_e32 v0, 5, v0
	v_add_lshl_u32 v0, v0, v38, 2
	v_bfe_u32 v4, v64, s36, 1
	; wave barrier
	v_add_u32_e32 v69, 20, v0
	ds_read_b32 v68, v0 offset:20
	v_lshl_add_u64 v[0:1], v[4:5], 0, -1
	v_cmp_ne_u32_e32 vcc, 0, v4
	v_lshrrev_b32_e32 v6, s36, v64
	s_nop 0
	v_xor_b32_e32 v1, vcc_hi, v1
	v_xor_b32_e32 v0, vcc_lo, v0
	v_and_b32_e32 v4, exec_hi, v1
	v_and_b32_e32 v7, exec_lo, v0
	v_lshlrev_b32_e32 v1, 30, v6
	v_mov_b32_e32 v0, v5
	v_cmp_gt_i64_e32 vcc, 0, v[0:1]
	v_not_b32_e32 v0, v1
	v_ashrrev_i32_e32 v0, 31, v0
	v_xor_b32_e32 v1, vcc_hi, v0
	v_xor_b32_e32 v0, vcc_lo, v0
	v_and_b32_e32 v4, v4, v1
	v_and_b32_e32 v7, v7, v0
	v_lshlrev_b32_e32 v1, 29, v6
	v_mov_b32_e32 v0, v5
	v_cmp_gt_i64_e32 vcc, 0, v[0:1]
	v_not_b32_e32 v0, v1
	v_ashrrev_i32_e32 v0, 31, v0
	v_xor_b32_e32 v1, vcc_hi, v0
	v_xor_b32_e32 v0, vcc_lo, v0
	v_and_b32_e32 v4, v4, v1
	v_and_b32_e32 v7, v7, v0
	;; [unrolled: 9-line block ×7, first 2 shown]
	v_mbcnt_lo_u32_b32 v4, v0, 0
	v_mbcnt_hi_u32_b32 v70, v1, v4
	v_cmp_eq_u32_e32 vcc, 0, v70
	v_cmp_ne_u64_e64 s[34:35], 0, v[0:1]
	s_and_b64 s[40:41], s[34:35], vcc
	; wave barrier
	s_and_saveexec_b64 s[34:35], s[40:41]
	s_cbranch_execz .LBB41_10
; %bb.9:                                ;   in Loop: Header=BB41_6 Depth=2
	v_bcnt_u32_b32 v0, v0, 0
	v_bcnt_u32_b32 v0, v1, v0
	s_waitcnt lgkmcnt(0)
	v_add_u32_e32 v0, v68, v0
	ds_write_b32 v69, v0
.LBB41_10:                              ;   in Loop: Header=BB41_6 Depth=2
	s_or_b64 exec, exec, s[34:35]
	v_bfe_u32 v0, v63, s36, 8
	v_mul_u32_u24_e32 v0, 5, v0
	v_add_lshl_u32 v0, v0, v38, 2
	v_bfe_u32 v4, v63, s36, 1
	; wave barrier
	v_add_u32_e32 v72, 20, v0
	ds_read_b32 v71, v0 offset:20
	v_lshl_add_u64 v[0:1], v[4:5], 0, -1
	v_cmp_ne_u32_e32 vcc, 0, v4
	v_lshrrev_b32_e32 v6, s36, v63
	s_nop 0
	v_xor_b32_e32 v1, vcc_hi, v1
	v_xor_b32_e32 v0, vcc_lo, v0
	v_and_b32_e32 v4, exec_hi, v1
	v_and_b32_e32 v7, exec_lo, v0
	v_lshlrev_b32_e32 v1, 30, v6
	v_mov_b32_e32 v0, v5
	v_cmp_gt_i64_e32 vcc, 0, v[0:1]
	v_not_b32_e32 v0, v1
	v_ashrrev_i32_e32 v0, 31, v0
	v_xor_b32_e32 v1, vcc_hi, v0
	v_xor_b32_e32 v0, vcc_lo, v0
	v_and_b32_e32 v4, v4, v1
	v_and_b32_e32 v7, v7, v0
	v_lshlrev_b32_e32 v1, 29, v6
	v_mov_b32_e32 v0, v5
	v_cmp_gt_i64_e32 vcc, 0, v[0:1]
	v_not_b32_e32 v0, v1
	v_ashrrev_i32_e32 v0, 31, v0
	v_xor_b32_e32 v1, vcc_hi, v0
	v_xor_b32_e32 v0, vcc_lo, v0
	v_and_b32_e32 v4, v4, v1
	v_and_b32_e32 v7, v7, v0
	;; [unrolled: 9-line block ×7, first 2 shown]
	v_mbcnt_lo_u32_b32 v4, v0, 0
	v_mbcnt_hi_u32_b32 v73, v1, v4
	v_cmp_eq_u32_e32 vcc, 0, v73
	v_cmp_ne_u64_e64 s[34:35], 0, v[0:1]
	s_and_b64 s[40:41], s[34:35], vcc
	; wave barrier
	s_and_saveexec_b64 s[34:35], s[40:41]
	s_cbranch_execz .LBB41_12
; %bb.11:                               ;   in Loop: Header=BB41_6 Depth=2
	v_bcnt_u32_b32 v0, v0, 0
	v_bcnt_u32_b32 v0, v1, v0
	s_waitcnt lgkmcnt(0)
	v_add_u32_e32 v0, v71, v0
	ds_write_b32 v72, v0
.LBB41_12:                              ;   in Loop: Header=BB41_6 Depth=2
	s_or_b64 exec, exec, s[34:35]
	v_bfe_u32 v0, v62, s36, 8
	v_mul_u32_u24_e32 v0, 5, v0
	v_add_lshl_u32 v0, v0, v38, 2
	v_bfe_u32 v4, v62, s36, 1
	; wave barrier
	v_add_u32_e32 v75, 20, v0
	ds_read_b32 v74, v0 offset:20
	v_lshl_add_u64 v[0:1], v[4:5], 0, -1
	v_cmp_ne_u32_e32 vcc, 0, v4
	v_lshrrev_b32_e32 v6, s36, v62
	s_nop 0
	v_xor_b32_e32 v1, vcc_hi, v1
	v_xor_b32_e32 v0, vcc_lo, v0
	v_and_b32_e32 v4, exec_hi, v1
	v_and_b32_e32 v7, exec_lo, v0
	v_lshlrev_b32_e32 v1, 30, v6
	v_mov_b32_e32 v0, v5
	v_cmp_gt_i64_e32 vcc, 0, v[0:1]
	v_not_b32_e32 v0, v1
	v_ashrrev_i32_e32 v0, 31, v0
	v_xor_b32_e32 v1, vcc_hi, v0
	v_xor_b32_e32 v0, vcc_lo, v0
	v_and_b32_e32 v4, v4, v1
	v_and_b32_e32 v7, v7, v0
	v_lshlrev_b32_e32 v1, 29, v6
	v_mov_b32_e32 v0, v5
	v_cmp_gt_i64_e32 vcc, 0, v[0:1]
	v_not_b32_e32 v0, v1
	v_ashrrev_i32_e32 v0, 31, v0
	v_xor_b32_e32 v1, vcc_hi, v0
	v_xor_b32_e32 v0, vcc_lo, v0
	v_and_b32_e32 v4, v4, v1
	v_and_b32_e32 v7, v7, v0
	;; [unrolled: 9-line block ×7, first 2 shown]
	v_mbcnt_lo_u32_b32 v4, v0, 0
	v_mbcnt_hi_u32_b32 v76, v1, v4
	v_cmp_eq_u32_e32 vcc, 0, v76
	v_cmp_ne_u64_e64 s[34:35], 0, v[0:1]
	s_and_b64 s[40:41], s[34:35], vcc
	; wave barrier
	s_and_saveexec_b64 s[34:35], s[40:41]
	s_cbranch_execz .LBB41_14
; %bb.13:                               ;   in Loop: Header=BB41_6 Depth=2
	v_bcnt_u32_b32 v0, v0, 0
	v_bcnt_u32_b32 v0, v1, v0
	s_waitcnt lgkmcnt(0)
	v_add_u32_e32 v0, v74, v0
	ds_write_b32 v75, v0
.LBB41_14:                              ;   in Loop: Header=BB41_6 Depth=2
	s_or_b64 exec, exec, s[34:35]
	v_bfe_u32 v0, v19, s36, 8
	v_mul_u32_u24_e32 v0, 5, v0
	v_add_lshl_u32 v0, v0, v38, 2
	v_bfe_u32 v4, v19, s36, 1
	; wave barrier
	v_add_u32_e32 v78, 20, v0
	ds_read_b32 v77, v0 offset:20
	v_lshl_add_u64 v[0:1], v[4:5], 0, -1
	v_cmp_ne_u32_e32 vcc, 0, v4
	v_lshrrev_b32_e32 v6, s36, v19
	s_nop 0
	v_xor_b32_e32 v1, vcc_hi, v1
	v_xor_b32_e32 v0, vcc_lo, v0
	v_and_b32_e32 v4, exec_hi, v1
	v_and_b32_e32 v7, exec_lo, v0
	v_lshlrev_b32_e32 v1, 30, v6
	v_mov_b32_e32 v0, v5
	v_cmp_gt_i64_e32 vcc, 0, v[0:1]
	v_not_b32_e32 v0, v1
	v_ashrrev_i32_e32 v0, 31, v0
	v_xor_b32_e32 v1, vcc_hi, v0
	v_xor_b32_e32 v0, vcc_lo, v0
	v_and_b32_e32 v4, v4, v1
	v_and_b32_e32 v7, v7, v0
	v_lshlrev_b32_e32 v1, 29, v6
	v_mov_b32_e32 v0, v5
	v_cmp_gt_i64_e32 vcc, 0, v[0:1]
	v_not_b32_e32 v0, v1
	v_ashrrev_i32_e32 v0, 31, v0
	v_xor_b32_e32 v1, vcc_hi, v0
	v_xor_b32_e32 v0, vcc_lo, v0
	v_and_b32_e32 v4, v4, v1
	v_and_b32_e32 v7, v7, v0
	v_lshlrev_b32_e32 v1, 28, v6
	v_mov_b32_e32 v0, v5
	v_cmp_gt_i64_e32 vcc, 0, v[0:1]
	v_not_b32_e32 v0, v1
	v_ashrrev_i32_e32 v0, 31, v0
	v_xor_b32_e32 v1, vcc_hi, v0
	v_xor_b32_e32 v0, vcc_lo, v0
	v_and_b32_e32 v4, v4, v1
	v_and_b32_e32 v7, v7, v0
	v_lshlrev_b32_e32 v1, 27, v6
	v_mov_b32_e32 v0, v5
	v_cmp_gt_i64_e32 vcc, 0, v[0:1]
	v_not_b32_e32 v0, v1
	v_ashrrev_i32_e32 v0, 31, v0
	v_xor_b32_e32 v1, vcc_hi, v0
	v_xor_b32_e32 v0, vcc_lo, v0
	v_and_b32_e32 v4, v4, v1
	v_and_b32_e32 v7, v7, v0
	v_lshlrev_b32_e32 v1, 26, v6
	v_mov_b32_e32 v0, v5
	v_cmp_gt_i64_e32 vcc, 0, v[0:1]
	v_not_b32_e32 v0, v1
	v_ashrrev_i32_e32 v0, 31, v0
	v_xor_b32_e32 v1, vcc_hi, v0
	v_xor_b32_e32 v0, vcc_lo, v0
	v_and_b32_e32 v4, v4, v1
	v_and_b32_e32 v7, v7, v0
	v_lshlrev_b32_e32 v1, 25, v6
	v_mov_b32_e32 v0, v5
	v_cmp_gt_i64_e32 vcc, 0, v[0:1]
	v_not_b32_e32 v0, v1
	v_ashrrev_i32_e32 v0, 31, v0
	v_xor_b32_e32 v1, vcc_hi, v0
	v_xor_b32_e32 v0, vcc_lo, v0
	v_and_b32_e32 v4, v4, v1
	v_and_b32_e32 v7, v7, v0
	v_lshlrev_b32_e32 v1, 24, v6
	v_mov_b32_e32 v0, v5
	v_cmp_gt_i64_e32 vcc, 0, v[0:1]
	v_not_b32_e32 v0, v1
	v_ashrrev_i32_e32 v0, 31, v0
	v_xor_b32_e32 v1, vcc_hi, v0
	v_xor_b32_e32 v0, vcc_lo, v0
	v_and_b32_e32 v0, v7, v0
	v_and_b32_e32 v1, v4, v1
	v_mbcnt_lo_u32_b32 v4, v0, 0
	v_mbcnt_hi_u32_b32 v79, v1, v4
	v_cmp_eq_u32_e32 vcc, 0, v79
	v_cmp_ne_u64_e64 s[34:35], 0, v[0:1]
	s_and_b64 s[40:41], s[34:35], vcc
	; wave barrier
	s_and_saveexec_b64 s[34:35], s[40:41]
	s_cbranch_execz .LBB41_16
; %bb.15:                               ;   in Loop: Header=BB41_6 Depth=2
	v_bcnt_u32_b32 v0, v0, 0
	v_bcnt_u32_b32 v0, v1, v0
	s_waitcnt lgkmcnt(0)
	v_add_u32_e32 v0, v77, v0
	ds_write_b32 v78, v0
.LBB41_16:                              ;   in Loop: Header=BB41_6 Depth=2
	s_or_b64 exec, exec, s[34:35]
	v_bfe_u32 v0, v18, s36, 8
	v_mul_u32_u24_e32 v0, 5, v0
	v_add_lshl_u32 v0, v0, v38, 2
	v_bfe_u32 v4, v18, s36, 1
	; wave barrier
	v_add_u32_e32 v81, 20, v0
	ds_read_b32 v80, v0 offset:20
	v_lshl_add_u64 v[0:1], v[4:5], 0, -1
	v_cmp_ne_u32_e32 vcc, 0, v4
	v_lshrrev_b32_e32 v6, s36, v18
	s_nop 0
	v_xor_b32_e32 v1, vcc_hi, v1
	v_xor_b32_e32 v0, vcc_lo, v0
	v_and_b32_e32 v4, exec_hi, v1
	v_and_b32_e32 v7, exec_lo, v0
	v_lshlrev_b32_e32 v1, 30, v6
	v_mov_b32_e32 v0, v5
	v_cmp_gt_i64_e32 vcc, 0, v[0:1]
	v_not_b32_e32 v0, v1
	v_ashrrev_i32_e32 v0, 31, v0
	v_xor_b32_e32 v1, vcc_hi, v0
	v_xor_b32_e32 v0, vcc_lo, v0
	v_and_b32_e32 v4, v4, v1
	v_and_b32_e32 v7, v7, v0
	v_lshlrev_b32_e32 v1, 29, v6
	v_mov_b32_e32 v0, v5
	v_cmp_gt_i64_e32 vcc, 0, v[0:1]
	v_not_b32_e32 v0, v1
	v_ashrrev_i32_e32 v0, 31, v0
	v_xor_b32_e32 v1, vcc_hi, v0
	v_xor_b32_e32 v0, vcc_lo, v0
	v_and_b32_e32 v4, v4, v1
	v_and_b32_e32 v7, v7, v0
	;; [unrolled: 9-line block ×7, first 2 shown]
	v_mbcnt_lo_u32_b32 v4, v0, 0
	v_mbcnt_hi_u32_b32 v82, v1, v4
	v_cmp_eq_u32_e32 vcc, 0, v82
	v_cmp_ne_u64_e64 s[34:35], 0, v[0:1]
	s_and_b64 s[40:41], s[34:35], vcc
	; wave barrier
	s_and_saveexec_b64 s[34:35], s[40:41]
	s_cbranch_execz .LBB41_18
; %bb.17:                               ;   in Loop: Header=BB41_6 Depth=2
	v_bcnt_u32_b32 v0, v0, 0
	v_bcnt_u32_b32 v0, v1, v0
	s_waitcnt lgkmcnt(0)
	v_add_u32_e32 v0, v80, v0
	ds_write_b32 v81, v0
.LBB41_18:                              ;   in Loop: Header=BB41_6 Depth=2
	s_or_b64 exec, exec, s[34:35]
	v_bfe_u32 v0, v17, s36, 8
	v_mul_u32_u24_e32 v0, 5, v0
	v_add_lshl_u32 v0, v0, v38, 2
	v_bfe_u32 v4, v17, s36, 1
	; wave barrier
	v_add_u32_e32 v84, 20, v0
	ds_read_b32 v83, v0 offset:20
	v_lshl_add_u64 v[0:1], v[4:5], 0, -1
	v_cmp_ne_u32_e32 vcc, 0, v4
	v_lshrrev_b32_e32 v6, s36, v17
	s_nop 0
	v_xor_b32_e32 v1, vcc_hi, v1
	v_xor_b32_e32 v0, vcc_lo, v0
	v_and_b32_e32 v4, exec_hi, v1
	v_and_b32_e32 v7, exec_lo, v0
	v_lshlrev_b32_e32 v1, 30, v6
	v_mov_b32_e32 v0, v5
	v_cmp_gt_i64_e32 vcc, 0, v[0:1]
	v_not_b32_e32 v0, v1
	v_ashrrev_i32_e32 v0, 31, v0
	v_xor_b32_e32 v1, vcc_hi, v0
	v_xor_b32_e32 v0, vcc_lo, v0
	v_and_b32_e32 v4, v4, v1
	v_and_b32_e32 v7, v7, v0
	v_lshlrev_b32_e32 v1, 29, v6
	v_mov_b32_e32 v0, v5
	v_cmp_gt_i64_e32 vcc, 0, v[0:1]
	v_not_b32_e32 v0, v1
	v_ashrrev_i32_e32 v0, 31, v0
	v_xor_b32_e32 v1, vcc_hi, v0
	v_xor_b32_e32 v0, vcc_lo, v0
	v_and_b32_e32 v4, v4, v1
	v_and_b32_e32 v7, v7, v0
	;; [unrolled: 9-line block ×7, first 2 shown]
	v_mbcnt_lo_u32_b32 v4, v0, 0
	v_mbcnt_hi_u32_b32 v85, v1, v4
	v_cmp_eq_u32_e32 vcc, 0, v85
	v_cmp_ne_u64_e64 s[34:35], 0, v[0:1]
	s_and_b64 s[40:41], s[34:35], vcc
	; wave barrier
	s_and_saveexec_b64 s[34:35], s[40:41]
	s_cbranch_execz .LBB41_20
; %bb.19:                               ;   in Loop: Header=BB41_6 Depth=2
	v_bcnt_u32_b32 v0, v0, 0
	v_bcnt_u32_b32 v0, v1, v0
	s_waitcnt lgkmcnt(0)
	v_add_u32_e32 v0, v83, v0
	ds_write_b32 v84, v0
.LBB41_20:                              ;   in Loop: Header=BB41_6 Depth=2
	s_or_b64 exec, exec, s[34:35]
	v_bfe_u32 v0, v16, s36, 8
	v_mul_u32_u24_e32 v0, 5, v0
	v_add_lshl_u32 v0, v0, v38, 2
	v_bfe_u32 v4, v16, s36, 1
	; wave barrier
	v_add_u32_e32 v87, 20, v0
	ds_read_b32 v86, v0 offset:20
	v_lshl_add_u64 v[0:1], v[4:5], 0, -1
	v_cmp_ne_u32_e32 vcc, 0, v4
	v_lshrrev_b32_e32 v6, s36, v16
	s_nop 0
	v_xor_b32_e32 v1, vcc_hi, v1
	v_xor_b32_e32 v0, vcc_lo, v0
	v_and_b32_e32 v4, exec_hi, v1
	v_and_b32_e32 v7, exec_lo, v0
	v_lshlrev_b32_e32 v1, 30, v6
	v_mov_b32_e32 v0, v5
	v_cmp_gt_i64_e32 vcc, 0, v[0:1]
	v_not_b32_e32 v0, v1
	v_ashrrev_i32_e32 v0, 31, v0
	v_xor_b32_e32 v1, vcc_hi, v0
	v_xor_b32_e32 v0, vcc_lo, v0
	v_and_b32_e32 v4, v4, v1
	v_and_b32_e32 v7, v7, v0
	v_lshlrev_b32_e32 v1, 29, v6
	v_mov_b32_e32 v0, v5
	v_cmp_gt_i64_e32 vcc, 0, v[0:1]
	v_not_b32_e32 v0, v1
	v_ashrrev_i32_e32 v0, 31, v0
	v_xor_b32_e32 v1, vcc_hi, v0
	v_xor_b32_e32 v0, vcc_lo, v0
	v_and_b32_e32 v4, v4, v1
	v_and_b32_e32 v7, v7, v0
	;; [unrolled: 9-line block ×7, first 2 shown]
	v_mbcnt_lo_u32_b32 v4, v0, 0
	v_mbcnt_hi_u32_b32 v88, v1, v4
	v_cmp_eq_u32_e32 vcc, 0, v88
	v_cmp_ne_u64_e64 s[34:35], 0, v[0:1]
	s_and_b64 s[40:41], s[34:35], vcc
	; wave barrier
	s_and_saveexec_b64 s[34:35], s[40:41]
	s_cbranch_execz .LBB41_22
; %bb.21:                               ;   in Loop: Header=BB41_6 Depth=2
	v_bcnt_u32_b32 v0, v0, 0
	v_bcnt_u32_b32 v0, v1, v0
	s_waitcnt lgkmcnt(0)
	v_add_u32_e32 v0, v86, v0
	ds_write_b32 v87, v0
.LBB41_22:                              ;   in Loop: Header=BB41_6 Depth=2
	s_or_b64 exec, exec, s[34:35]
	v_bfe_u32 v0, v15, s36, 8
	v_mul_u32_u24_e32 v0, 5, v0
	v_add_lshl_u32 v0, v0, v38, 2
	v_bfe_u32 v4, v15, s36, 1
	; wave barrier
	v_add_u32_e32 v90, 20, v0
	ds_read_b32 v89, v0 offset:20
	v_lshl_add_u64 v[0:1], v[4:5], 0, -1
	v_cmp_ne_u32_e32 vcc, 0, v4
	v_lshrrev_b32_e32 v6, s36, v15
	s_nop 0
	v_xor_b32_e32 v1, vcc_hi, v1
	v_xor_b32_e32 v0, vcc_lo, v0
	v_and_b32_e32 v4, exec_hi, v1
	v_and_b32_e32 v7, exec_lo, v0
	v_lshlrev_b32_e32 v1, 30, v6
	v_mov_b32_e32 v0, v5
	v_cmp_gt_i64_e32 vcc, 0, v[0:1]
	v_not_b32_e32 v0, v1
	v_ashrrev_i32_e32 v0, 31, v0
	v_xor_b32_e32 v1, vcc_hi, v0
	v_xor_b32_e32 v0, vcc_lo, v0
	v_and_b32_e32 v4, v4, v1
	v_and_b32_e32 v7, v7, v0
	v_lshlrev_b32_e32 v1, 29, v6
	v_mov_b32_e32 v0, v5
	v_cmp_gt_i64_e32 vcc, 0, v[0:1]
	v_not_b32_e32 v0, v1
	v_ashrrev_i32_e32 v0, 31, v0
	v_xor_b32_e32 v1, vcc_hi, v0
	v_xor_b32_e32 v0, vcc_lo, v0
	v_and_b32_e32 v4, v4, v1
	v_and_b32_e32 v7, v7, v0
	;; [unrolled: 9-line block ×7, first 2 shown]
	v_mbcnt_lo_u32_b32 v4, v0, 0
	v_mbcnt_hi_u32_b32 v91, v1, v4
	v_cmp_eq_u32_e32 vcc, 0, v91
	v_cmp_ne_u64_e64 s[34:35], 0, v[0:1]
	s_and_b64 s[40:41], s[34:35], vcc
	; wave barrier
	s_and_saveexec_b64 s[34:35], s[40:41]
	s_cbranch_execz .LBB41_24
; %bb.23:                               ;   in Loop: Header=BB41_6 Depth=2
	v_bcnt_u32_b32 v0, v0, 0
	v_bcnt_u32_b32 v0, v1, v0
	s_waitcnt lgkmcnt(0)
	v_add_u32_e32 v0, v89, v0
	ds_write_b32 v90, v0
.LBB41_24:                              ;   in Loop: Header=BB41_6 Depth=2
	s_or_b64 exec, exec, s[34:35]
	v_bfe_u32 v0, v14, s36, 8
	v_mul_u32_u24_e32 v0, 5, v0
	v_add_lshl_u32 v0, v0, v38, 2
	v_bfe_u32 v4, v14, s36, 1
	; wave barrier
	v_add_u32_e32 v93, 20, v0
	ds_read_b32 v92, v0 offset:20
	v_lshl_add_u64 v[0:1], v[4:5], 0, -1
	v_cmp_ne_u32_e32 vcc, 0, v4
	v_lshrrev_b32_e32 v6, s36, v14
	s_nop 0
	v_xor_b32_e32 v1, vcc_hi, v1
	v_xor_b32_e32 v0, vcc_lo, v0
	v_and_b32_e32 v4, exec_hi, v1
	v_and_b32_e32 v7, exec_lo, v0
	v_lshlrev_b32_e32 v1, 30, v6
	v_mov_b32_e32 v0, v5
	v_cmp_gt_i64_e32 vcc, 0, v[0:1]
	v_not_b32_e32 v0, v1
	v_ashrrev_i32_e32 v0, 31, v0
	v_xor_b32_e32 v1, vcc_hi, v0
	v_xor_b32_e32 v0, vcc_lo, v0
	v_and_b32_e32 v4, v4, v1
	v_and_b32_e32 v7, v7, v0
	v_lshlrev_b32_e32 v1, 29, v6
	v_mov_b32_e32 v0, v5
	v_cmp_gt_i64_e32 vcc, 0, v[0:1]
	v_not_b32_e32 v0, v1
	v_ashrrev_i32_e32 v0, 31, v0
	v_xor_b32_e32 v1, vcc_hi, v0
	v_xor_b32_e32 v0, vcc_lo, v0
	v_and_b32_e32 v4, v4, v1
	v_and_b32_e32 v7, v7, v0
	;; [unrolled: 9-line block ×7, first 2 shown]
	v_mbcnt_lo_u32_b32 v4, v0, 0
	v_mbcnt_hi_u32_b32 v94, v1, v4
	v_cmp_eq_u32_e32 vcc, 0, v94
	v_cmp_ne_u64_e64 s[34:35], 0, v[0:1]
	s_and_b64 s[40:41], s[34:35], vcc
	; wave barrier
	s_and_saveexec_b64 s[34:35], s[40:41]
	s_cbranch_execz .LBB41_26
; %bb.25:                               ;   in Loop: Header=BB41_6 Depth=2
	v_bcnt_u32_b32 v0, v0, 0
	v_bcnt_u32_b32 v0, v1, v0
	s_waitcnt lgkmcnt(0)
	v_add_u32_e32 v0, v92, v0
	ds_write_b32 v93, v0
.LBB41_26:                              ;   in Loop: Header=BB41_6 Depth=2
	s_or_b64 exec, exec, s[34:35]
	v_bfe_u32 v0, v13, s36, 8
	v_mul_u32_u24_e32 v0, 5, v0
	v_add_lshl_u32 v0, v0, v38, 2
	v_bfe_u32 v4, v13, s36, 1
	; wave barrier
	v_add_u32_e32 v96, 20, v0
	ds_read_b32 v95, v0 offset:20
	v_lshl_add_u64 v[0:1], v[4:5], 0, -1
	v_cmp_ne_u32_e32 vcc, 0, v4
	v_lshrrev_b32_e32 v6, s36, v13
	s_nop 0
	v_xor_b32_e32 v1, vcc_hi, v1
	v_xor_b32_e32 v0, vcc_lo, v0
	v_and_b32_e32 v4, exec_hi, v1
	v_and_b32_e32 v7, exec_lo, v0
	v_lshlrev_b32_e32 v1, 30, v6
	v_mov_b32_e32 v0, v5
	v_cmp_gt_i64_e32 vcc, 0, v[0:1]
	v_not_b32_e32 v0, v1
	v_ashrrev_i32_e32 v0, 31, v0
	v_xor_b32_e32 v1, vcc_hi, v0
	v_xor_b32_e32 v0, vcc_lo, v0
	v_and_b32_e32 v4, v4, v1
	v_and_b32_e32 v7, v7, v0
	v_lshlrev_b32_e32 v1, 29, v6
	v_mov_b32_e32 v0, v5
	v_cmp_gt_i64_e32 vcc, 0, v[0:1]
	v_not_b32_e32 v0, v1
	v_ashrrev_i32_e32 v0, 31, v0
	v_xor_b32_e32 v1, vcc_hi, v0
	v_xor_b32_e32 v0, vcc_lo, v0
	v_and_b32_e32 v4, v4, v1
	v_and_b32_e32 v7, v7, v0
	;; [unrolled: 9-line block ×7, first 2 shown]
	v_mbcnt_lo_u32_b32 v4, v0, 0
	v_mbcnt_hi_u32_b32 v97, v1, v4
	v_cmp_eq_u32_e32 vcc, 0, v97
	v_cmp_ne_u64_e64 s[34:35], 0, v[0:1]
	s_and_b64 s[40:41], s[34:35], vcc
	; wave barrier
	s_and_saveexec_b64 s[34:35], s[40:41]
	s_cbranch_execz .LBB41_28
; %bb.27:                               ;   in Loop: Header=BB41_6 Depth=2
	v_bcnt_u32_b32 v0, v0, 0
	v_bcnt_u32_b32 v0, v1, v0
	s_waitcnt lgkmcnt(0)
	v_add_u32_e32 v0, v95, v0
	ds_write_b32 v96, v0
.LBB41_28:                              ;   in Loop: Header=BB41_6 Depth=2
	s_or_b64 exec, exec, s[34:35]
	v_bfe_u32 v0, v12, s36, 8
	v_mul_u32_u24_e32 v0, 5, v0
	v_add_lshl_u32 v0, v0, v38, 2
	v_bfe_u32 v4, v12, s36, 1
	; wave barrier
	v_add_u32_e32 v99, 20, v0
	ds_read_b32 v98, v0 offset:20
	v_lshl_add_u64 v[0:1], v[4:5], 0, -1
	v_cmp_ne_u32_e32 vcc, 0, v4
	v_lshrrev_b32_e32 v6, s36, v12
	s_nop 0
	v_xor_b32_e32 v1, vcc_hi, v1
	v_xor_b32_e32 v0, vcc_lo, v0
	v_and_b32_e32 v4, exec_hi, v1
	v_and_b32_e32 v7, exec_lo, v0
	v_lshlrev_b32_e32 v1, 30, v6
	v_mov_b32_e32 v0, v5
	v_cmp_gt_i64_e32 vcc, 0, v[0:1]
	v_not_b32_e32 v0, v1
	v_ashrrev_i32_e32 v0, 31, v0
	v_xor_b32_e32 v1, vcc_hi, v0
	v_xor_b32_e32 v0, vcc_lo, v0
	v_and_b32_e32 v4, v4, v1
	v_and_b32_e32 v7, v7, v0
	v_lshlrev_b32_e32 v1, 29, v6
	v_mov_b32_e32 v0, v5
	v_cmp_gt_i64_e32 vcc, 0, v[0:1]
	v_not_b32_e32 v0, v1
	v_ashrrev_i32_e32 v0, 31, v0
	v_xor_b32_e32 v1, vcc_hi, v0
	v_xor_b32_e32 v0, vcc_lo, v0
	v_and_b32_e32 v4, v4, v1
	v_and_b32_e32 v7, v7, v0
	;; [unrolled: 9-line block ×7, first 2 shown]
	v_mbcnt_lo_u32_b32 v4, v0, 0
	v_mbcnt_hi_u32_b32 v100, v1, v4
	v_cmp_eq_u32_e32 vcc, 0, v100
	v_cmp_ne_u64_e64 s[34:35], 0, v[0:1]
	s_and_b64 s[40:41], s[34:35], vcc
	; wave barrier
	s_and_saveexec_b64 s[34:35], s[40:41]
	s_cbranch_execz .LBB41_30
; %bb.29:                               ;   in Loop: Header=BB41_6 Depth=2
	v_bcnt_u32_b32 v0, v0, 0
	v_bcnt_u32_b32 v0, v1, v0
	s_waitcnt lgkmcnt(0)
	v_add_u32_e32 v0, v98, v0
	ds_write_b32 v99, v0
.LBB41_30:                              ;   in Loop: Header=BB41_6 Depth=2
	s_or_b64 exec, exec, s[34:35]
	v_bfe_u32 v0, v11, s36, 8
	v_mul_u32_u24_e32 v0, 5, v0
	v_add_lshl_u32 v0, v0, v38, 2
	v_bfe_u32 v4, v11, s36, 1
	; wave barrier
	v_add_u32_e32 v102, 20, v0
	ds_read_b32 v101, v0 offset:20
	v_lshl_add_u64 v[0:1], v[4:5], 0, -1
	v_cmp_ne_u32_e32 vcc, 0, v4
	v_lshrrev_b32_e32 v6, s36, v11
	s_nop 0
	v_xor_b32_e32 v1, vcc_hi, v1
	v_xor_b32_e32 v0, vcc_lo, v0
	v_and_b32_e32 v4, exec_hi, v1
	v_and_b32_e32 v7, exec_lo, v0
	v_lshlrev_b32_e32 v1, 30, v6
	v_mov_b32_e32 v0, v5
	v_cmp_gt_i64_e32 vcc, 0, v[0:1]
	v_not_b32_e32 v0, v1
	v_ashrrev_i32_e32 v0, 31, v0
	v_xor_b32_e32 v1, vcc_hi, v0
	v_xor_b32_e32 v0, vcc_lo, v0
	v_and_b32_e32 v4, v4, v1
	v_and_b32_e32 v7, v7, v0
	v_lshlrev_b32_e32 v1, 29, v6
	v_mov_b32_e32 v0, v5
	v_cmp_gt_i64_e32 vcc, 0, v[0:1]
	v_not_b32_e32 v0, v1
	v_ashrrev_i32_e32 v0, 31, v0
	v_xor_b32_e32 v1, vcc_hi, v0
	v_xor_b32_e32 v0, vcc_lo, v0
	v_and_b32_e32 v4, v4, v1
	v_and_b32_e32 v7, v7, v0
	;; [unrolled: 9-line block ×7, first 2 shown]
	v_mbcnt_lo_u32_b32 v4, v0, 0
	v_mbcnt_hi_u32_b32 v103, v1, v4
	v_cmp_eq_u32_e32 vcc, 0, v103
	v_cmp_ne_u64_e64 s[34:35], 0, v[0:1]
	s_and_b64 s[40:41], s[34:35], vcc
	; wave barrier
	s_and_saveexec_b64 s[34:35], s[40:41]
	s_cbranch_execz .LBB41_32
; %bb.31:                               ;   in Loop: Header=BB41_6 Depth=2
	v_bcnt_u32_b32 v0, v0, 0
	v_bcnt_u32_b32 v0, v1, v0
	s_waitcnt lgkmcnt(0)
	v_add_u32_e32 v0, v101, v0
	ds_write_b32 v102, v0
.LBB41_32:                              ;   in Loop: Header=BB41_6 Depth=2
	s_or_b64 exec, exec, s[34:35]
	v_bfe_u32 v0, v10, s36, 8
	v_mul_u32_u24_e32 v0, 5, v0
	v_add_lshl_u32 v0, v0, v38, 2
	v_bfe_u32 v4, v10, s36, 1
	; wave barrier
	v_add_u32_e32 v105, 20, v0
	ds_read_b32 v104, v0 offset:20
	v_lshl_add_u64 v[0:1], v[4:5], 0, -1
	v_cmp_ne_u32_e32 vcc, 0, v4
	v_lshrrev_b32_e32 v6, s36, v10
	s_nop 0
	v_xor_b32_e32 v1, vcc_hi, v1
	v_xor_b32_e32 v0, vcc_lo, v0
	v_and_b32_e32 v4, exec_hi, v1
	v_and_b32_e32 v7, exec_lo, v0
	v_lshlrev_b32_e32 v1, 30, v6
	v_mov_b32_e32 v0, v5
	v_cmp_gt_i64_e32 vcc, 0, v[0:1]
	v_not_b32_e32 v0, v1
	v_ashrrev_i32_e32 v0, 31, v0
	v_xor_b32_e32 v1, vcc_hi, v0
	v_xor_b32_e32 v0, vcc_lo, v0
	v_and_b32_e32 v4, v4, v1
	v_and_b32_e32 v7, v7, v0
	v_lshlrev_b32_e32 v1, 29, v6
	v_mov_b32_e32 v0, v5
	v_cmp_gt_i64_e32 vcc, 0, v[0:1]
	v_not_b32_e32 v0, v1
	v_ashrrev_i32_e32 v0, 31, v0
	v_xor_b32_e32 v1, vcc_hi, v0
	v_xor_b32_e32 v0, vcc_lo, v0
	v_and_b32_e32 v4, v4, v1
	v_and_b32_e32 v7, v7, v0
	;; [unrolled: 9-line block ×7, first 2 shown]
	v_mbcnt_lo_u32_b32 v4, v0, 0
	v_mbcnt_hi_u32_b32 v106, v1, v4
	v_cmp_eq_u32_e32 vcc, 0, v106
	v_cmp_ne_u64_e64 s[34:35], 0, v[0:1]
	s_and_b64 s[40:41], s[34:35], vcc
	; wave barrier
	s_and_saveexec_b64 s[34:35], s[40:41]
	s_cbranch_execz .LBB41_34
; %bb.33:                               ;   in Loop: Header=BB41_6 Depth=2
	v_bcnt_u32_b32 v0, v0, 0
	v_bcnt_u32_b32 v0, v1, v0
	s_waitcnt lgkmcnt(0)
	v_add_u32_e32 v0, v104, v0
	ds_write_b32 v105, v0
.LBB41_34:                              ;   in Loop: Header=BB41_6 Depth=2
	s_or_b64 exec, exec, s[34:35]
	v_bfe_u32 v0, v9, s36, 8
	v_mul_u32_u24_e32 v0, 5, v0
	v_add_lshl_u32 v0, v0, v38, 2
	v_bfe_u32 v4, v9, s36, 1
	; wave barrier
	v_add_u32_e32 v108, 20, v0
	ds_read_b32 v107, v0 offset:20
	v_lshl_add_u64 v[0:1], v[4:5], 0, -1
	v_cmp_ne_u32_e32 vcc, 0, v4
	v_lshrrev_b32_e32 v6, s36, v9
	s_nop 0
	v_xor_b32_e32 v1, vcc_hi, v1
	v_xor_b32_e32 v0, vcc_lo, v0
	v_and_b32_e32 v4, exec_hi, v1
	v_and_b32_e32 v7, exec_lo, v0
	v_lshlrev_b32_e32 v1, 30, v6
	v_mov_b32_e32 v0, v5
	v_cmp_gt_i64_e32 vcc, 0, v[0:1]
	v_not_b32_e32 v0, v1
	v_ashrrev_i32_e32 v0, 31, v0
	v_xor_b32_e32 v1, vcc_hi, v0
	v_xor_b32_e32 v0, vcc_lo, v0
	v_and_b32_e32 v4, v4, v1
	v_and_b32_e32 v7, v7, v0
	v_lshlrev_b32_e32 v1, 29, v6
	v_mov_b32_e32 v0, v5
	v_cmp_gt_i64_e32 vcc, 0, v[0:1]
	v_not_b32_e32 v0, v1
	v_ashrrev_i32_e32 v0, 31, v0
	v_xor_b32_e32 v1, vcc_hi, v0
	v_xor_b32_e32 v0, vcc_lo, v0
	v_and_b32_e32 v4, v4, v1
	v_and_b32_e32 v7, v7, v0
	;; [unrolled: 9-line block ×7, first 2 shown]
	v_mbcnt_lo_u32_b32 v4, v0, 0
	v_mbcnt_hi_u32_b32 v109, v1, v4
	v_cmp_eq_u32_e32 vcc, 0, v109
	v_cmp_ne_u64_e64 s[34:35], 0, v[0:1]
	s_and_b64 s[40:41], s[34:35], vcc
	; wave barrier
	s_and_saveexec_b64 s[34:35], s[40:41]
	s_cbranch_execz .LBB41_36
; %bb.35:                               ;   in Loop: Header=BB41_6 Depth=2
	v_bcnt_u32_b32 v0, v0, 0
	v_bcnt_u32_b32 v0, v1, v0
	s_waitcnt lgkmcnt(0)
	v_add_u32_e32 v0, v107, v0
	ds_write_b32 v108, v0
.LBB41_36:                              ;   in Loop: Header=BB41_6 Depth=2
	s_or_b64 exec, exec, s[34:35]
	v_bfe_u32 v0, v8, s36, 8
	v_mul_u32_u24_e32 v0, 5, v0
	v_add_lshl_u32 v0, v0, v38, 2
	v_bfe_u32 v4, v8, s36, 1
	; wave barrier
	v_add_u32_e32 v111, 20, v0
	ds_read_b32 v110, v0 offset:20
	v_lshl_add_u64 v[0:1], v[4:5], 0, -1
	v_cmp_ne_u32_e32 vcc, 0, v4
	v_lshrrev_b32_e32 v6, s36, v8
	s_nop 0
	v_xor_b32_e32 v1, vcc_hi, v1
	v_xor_b32_e32 v0, vcc_lo, v0
	v_and_b32_e32 v4, exec_hi, v1
	v_and_b32_e32 v7, exec_lo, v0
	v_lshlrev_b32_e32 v1, 30, v6
	v_mov_b32_e32 v0, v5
	v_cmp_gt_i64_e32 vcc, 0, v[0:1]
	v_not_b32_e32 v0, v1
	v_ashrrev_i32_e32 v0, 31, v0
	v_xor_b32_e32 v1, vcc_hi, v0
	v_xor_b32_e32 v0, vcc_lo, v0
	v_and_b32_e32 v4, v4, v1
	v_and_b32_e32 v7, v7, v0
	v_lshlrev_b32_e32 v1, 29, v6
	v_mov_b32_e32 v0, v5
	v_cmp_gt_i64_e32 vcc, 0, v[0:1]
	v_not_b32_e32 v0, v1
	v_ashrrev_i32_e32 v0, 31, v0
	v_xor_b32_e32 v1, vcc_hi, v0
	v_xor_b32_e32 v0, vcc_lo, v0
	v_and_b32_e32 v4, v4, v1
	v_and_b32_e32 v7, v7, v0
	;; [unrolled: 9-line block ×7, first 2 shown]
	v_mbcnt_lo_u32_b32 v4, v0, 0
	v_mbcnt_hi_u32_b32 v112, v1, v4
	v_cmp_eq_u32_e32 vcc, 0, v112
	v_cmp_ne_u64_e64 s[34:35], 0, v[0:1]
	s_and_b64 s[40:41], s[34:35], vcc
	; wave barrier
	s_and_saveexec_b64 s[34:35], s[40:41]
	s_cbranch_execz .LBB41_38
; %bb.37:                               ;   in Loop: Header=BB41_6 Depth=2
	v_bcnt_u32_b32 v0, v0, 0
	v_bcnt_u32_b32 v0, v1, v0
	s_waitcnt lgkmcnt(0)
	v_add_u32_e32 v0, v110, v0
	ds_write_b32 v111, v0
.LBB41_38:                              ;   in Loop: Header=BB41_6 Depth=2
	s_or_b64 exec, exec, s[34:35]
	; wave barrier
	s_waitcnt lgkmcnt(0)
	s_barrier
	ds_read2_b32 v[6:7], v3 offset0:5 offset1:6
	ds_read2_b32 v[0:1], v37 offset0:2 offset1:3
	s_waitcnt lgkmcnt(1)
	v_add_u32_e32 v4, v7, v6
	s_waitcnt lgkmcnt(0)
	v_add3_u32 v1, v4, v0, v1
	s_nop 1
	v_mov_b32_dpp v4, v1 row_shr:1 row_mask:0xf bank_mask:0xf
	v_cndmask_b32_e64 v4, v4, 0, s[2:3]
	v_add_u32_e32 v1, v4, v1
	s_nop 1
	v_mov_b32_dpp v4, v1 row_shr:2 row_mask:0xf bank_mask:0xf
	v_cndmask_b32_e64 v4, 0, v4, s[4:5]
	v_add_u32_e32 v1, v1, v4
	;; [unrolled: 4-line block ×4, first 2 shown]
	s_nop 1
	v_mov_b32_dpp v4, v1 row_bcast:15 row_mask:0xf bank_mask:0xf
	v_cndmask_b32_e64 v4, v4, 0, s[10:11]
	v_add_u32_e32 v1, v1, v4
	s_nop 1
	v_mov_b32_dpp v4, v1 row_bcast:31 row_mask:0xf bank_mask:0xf
	v_cndmask_b32_e64 v4, 0, v4, s[12:13]
	v_add_u32_e32 v1, v1, v4
	s_and_saveexec_b64 s[34:35], s[14:15]
	s_cbranch_execz .LBB41_40
; %bb.39:                               ;   in Loop: Header=BB41_6 Depth=2
	ds_write_b32 v41, v1
.LBB41_40:                              ;   in Loop: Header=BB41_6 Depth=2
	s_or_b64 exec, exec, s[34:35]
	s_waitcnt lgkmcnt(0)
	s_barrier
	s_and_saveexec_b64 s[34:35], s[16:17]
	s_cbranch_execz .LBB41_42
; %bb.41:                               ;   in Loop: Header=BB41_6 Depth=2
	ds_read_b32 v4, v42
	s_waitcnt lgkmcnt(0)
	s_nop 0
	v_mov_b32_dpp v113, v4 row_shr:1 row_mask:0xf bank_mask:0xf
	v_cndmask_b32_e64 v113, v113, 0, s[26:27]
	v_add_u32_e32 v4, v113, v4
	s_nop 1
	v_mov_b32_dpp v113, v4 row_shr:2 row_mask:0xf bank_mask:0xf
	v_cndmask_b32_e64 v113, 0, v113, s[28:29]
	v_add_u32_e32 v4, v4, v113
	;; [unrolled: 4-line block ×3, first 2 shown]
	ds_write_b32 v42, v4
.LBB41_42:                              ;   in Loop: Header=BB41_6 Depth=2
	s_or_b64 exec, exec, s[34:35]
	v_mov_b32_e32 v4, 0
	s_waitcnt lgkmcnt(0)
	s_barrier
	s_and_saveexec_b64 s[34:35], s[18:19]
	s_cbranch_execz .LBB41_44
; %bb.43:                               ;   in Loop: Header=BB41_6 Depth=2
	ds_read_b32 v4, v43
.LBB41_44:                              ;   in Loop: Header=BB41_6 Depth=2
	s_or_b64 exec, exec, s[34:35]
	s_waitcnt lgkmcnt(0)
	v_add_u32_e32 v1, v4, v1
	ds_bpermute_b32 v1, v40, v1
	s_cmp_gt_u32 s36, 23
	s_waitcnt lgkmcnt(0)
	v_cndmask_b32_e64 v1, v1, v4, s[20:21]
	v_cndmask_b32_e64 v1, v1, 0, s[22:23]
	v_add_u32_e32 v4, v1, v6
	v_add_u32_e32 v6, v4, v7
	v_add_u32_e32 v0, v6, v0
	ds_write2_b32 v3, v1, v4 offset0:5 offset1:6
	ds_write2_b32 v37, v6, v0 offset0:2 offset1:3
	s_waitcnt lgkmcnt(0)
	s_barrier
	ds_read_b32 v0, v66
	ds_read_b32 v1, v69
	;; [unrolled: 1-line block ×8, first 2 shown]
	s_waitcnt lgkmcnt(7)
	v_add_u32_e32 v81, v0, v67
	s_waitcnt lgkmcnt(6)
	v_add3_u32 v78, v70, v68, v1
	s_waitcnt lgkmcnt(5)
	v_add3_u32 v75, v73, v71, v4
	;; [unrolled: 2-line block ×4, first 2 shown]
	ds_read_b32 v0, v90
	ds_read_b32 v1, v93
	;; [unrolled: 1-line block ×8, first 2 shown]
	s_waitcnt lgkmcnt(10)
	v_add3_u32 v68, v82, v80, v66
	s_waitcnt lgkmcnt(9)
	v_add3_u32 v66, v85, v83, v69
	;; [unrolled: 2-line block ×11, first 2 shown]
	s_cbranch_scc0 .LBB41_5
; %bb.45:                               ;   in Loop: Header=BB41_2 Depth=1
                                        ; implicit-def: $sgpr36
                                        ; implicit-def: $vgpr74
                                        ; implicit-def: $vgpr76
                                        ; implicit-def: $vgpr77
                                        ; implicit-def: $vgpr79
                                        ; implicit-def: $vgpr80
                                        ; implicit-def: $vgpr82
                                        ; implicit-def: $vgpr83
                                        ; implicit-def: $vgpr84
                                        ; implicit-def: $vgpr85
                                        ; implicit-def: $vgpr86
                                        ; implicit-def: $vgpr87
                                        ; implicit-def: $vgpr88
                                        ; implicit-def: $vgpr89
                                        ; implicit-def: $vgpr90
                                        ; implicit-def: $vgpr91
                                        ; implicit-def: $vgpr92
.LBB41_46:                              ;   in Loop: Header=BB41_2 Depth=1
	v_lshrrev_b32_e32 v74, 3, v81
	v_and_b32_e32 v74, 0x1ffffffc, v74
	v_lshl_add_u32 v74, v81, 2, v74
	s_barrier
	ds_write_b32 v74, v65
	v_lshrrev_b32_e32 v65, 3, v78
	v_and_b32_e32 v65, 0x1ffffffc, v65
	v_lshl_add_u32 v65, v78, 2, v65
	ds_write_b32 v65, v64
	v_lshrrev_b32_e32 v64, 3, v75
	v_and_b32_e32 v64, 0x1ffffffc, v64
	v_lshl_add_u32 v64, v75, 2, v64
	;; [unrolled: 4-line block ×15, first 2 shown]
	ds_write_b32 v0, v8
	s_waitcnt lgkmcnt(0)
	s_barrier
	ds_read2_b32 v[0:1], v44 offset1:1
	ds_read2_b32 v[6:7], v44 offset0:2 offset1:3
	ds_read2_b32 v[8:9], v44 offset0:4 offset1:5
	;; [unrolled: 1-line block ×7, first 2 shown]
	s_waitcnt lgkmcnt(0)
	s_barrier
	s_and_saveexec_b64 s[34:35], s[0:1]
	s_cbranch_execz .LBB41_48
; %bb.47:                               ;   in Loop: Header=BB41_2 Depth=1
	ds_write2st64_b32 v42, v61, v61 offset0:10 offset1:15
.LBB41_48:                              ;   in Loop: Header=BB41_2 Depth=1
	s_or_b64 exec, exec, s[34:35]
	v_xor_b32_e32 v4, 0x80000000, v18
	v_xor_b32_e32 v62, 0x80000000, v19
	v_cmp_ne_u32_e32 vcc, v18, v19
	v_lshlrev_b32_e32 v4, 2, v4
	s_waitcnt lgkmcnt(0)
	s_barrier
	ds_write_b32 v42, v62
	s_and_saveexec_b64 s[34:35], vcc
	s_cbranch_execz .LBB41_50
; %bb.49:                               ;   in Loop: Header=BB41_2 Depth=1
	v_lshlrev_b32_e32 v62, 2, v62
	ds_write_b32 v62, v45 offset:2560
	ds_write_b32 v4, v45 offset:3840
.LBB41_50:                              ;   in Loop: Header=BB41_2 Depth=1
	s_or_b64 exec, exec, s[34:35]
	v_xor_b32_e32 v62, 0x80000000, v17
	v_cmp_ne_u32_e32 vcc, v17, v18
	v_lshlrev_b32_e32 v62, 2, v62
	s_and_saveexec_b64 s[34:35], vcc
	s_cbranch_execz .LBB41_52
; %bb.51:                               ;   in Loop: Header=BB41_2 Depth=1
	ds_write_b32 v4, v46 offset:2560
	ds_write_b32 v62, v46 offset:3840
.LBB41_52:                              ;   in Loop: Header=BB41_2 Depth=1
	s_or_b64 exec, exec, s[34:35]
	v_xor_b32_e32 v4, 0x80000000, v16
	v_cmp_ne_u32_e32 vcc, v16, v17
	v_lshlrev_b32_e32 v4, 2, v4
	s_and_saveexec_b64 s[34:35], vcc
	s_cbranch_execz .LBB41_54
; %bb.53:                               ;   in Loop: Header=BB41_2 Depth=1
	ds_write_b32 v62, v47 offset:2560
	ds_write_b32 v4, v47 offset:3840
.LBB41_54:                              ;   in Loop: Header=BB41_2 Depth=1
	s_or_b64 exec, exec, s[34:35]
	v_xor_b32_e32 v62, 0x80000000, v15
	v_cmp_ne_u32_e32 vcc, v15, v16
	v_lshlrev_b32_e32 v62, 2, v62
	s_and_saveexec_b64 s[34:35], vcc
	s_cbranch_execz .LBB41_56
; %bb.55:                               ;   in Loop: Header=BB41_2 Depth=1
	ds_write_b32 v4, v48 offset:2560
	ds_write_b32 v62, v48 offset:3840
.LBB41_56:                              ;   in Loop: Header=BB41_2 Depth=1
	s_or_b64 exec, exec, s[34:35]
	v_xor_b32_e32 v4, 0x80000000, v14
	v_cmp_ne_u32_e32 vcc, v14, v15
	v_lshlrev_b32_e32 v4, 2, v4
	s_and_saveexec_b64 s[34:35], vcc
	s_cbranch_execz .LBB41_58
; %bb.57:                               ;   in Loop: Header=BB41_2 Depth=1
	ds_write_b32 v62, v49 offset:2560
	ds_write_b32 v4, v49 offset:3840
.LBB41_58:                              ;   in Loop: Header=BB41_2 Depth=1
	s_or_b64 exec, exec, s[34:35]
	v_xor_b32_e32 v62, 0x80000000, v13
	v_cmp_ne_u32_e32 vcc, v13, v14
	v_lshlrev_b32_e32 v62, 2, v62
	s_and_saveexec_b64 s[34:35], vcc
	s_cbranch_execz .LBB41_60
; %bb.59:                               ;   in Loop: Header=BB41_2 Depth=1
	ds_write_b32 v4, v50 offset:2560
	ds_write_b32 v62, v50 offset:3840
.LBB41_60:                              ;   in Loop: Header=BB41_2 Depth=1
	s_or_b64 exec, exec, s[34:35]
	v_xor_b32_e32 v4, 0x80000000, v12
	v_cmp_ne_u32_e32 vcc, v12, v13
	v_lshlrev_b32_e32 v4, 2, v4
	s_and_saveexec_b64 s[34:35], vcc
	s_cbranch_execz .LBB41_62
; %bb.61:                               ;   in Loop: Header=BB41_2 Depth=1
	ds_write_b32 v62, v51 offset:2560
	ds_write_b32 v4, v51 offset:3840
.LBB41_62:                              ;   in Loop: Header=BB41_2 Depth=1
	s_or_b64 exec, exec, s[34:35]
	v_xor_b32_e32 v62, 0x80000000, v11
	v_cmp_ne_u32_e32 vcc, v11, v12
	v_lshlrev_b32_e32 v62, 2, v62
	s_and_saveexec_b64 s[34:35], vcc
	s_cbranch_execz .LBB41_64
; %bb.63:                               ;   in Loop: Header=BB41_2 Depth=1
	ds_write_b32 v4, v52 offset:2560
	ds_write_b32 v62, v52 offset:3840
.LBB41_64:                              ;   in Loop: Header=BB41_2 Depth=1
	s_or_b64 exec, exec, s[34:35]
	v_xor_b32_e32 v4, 0x80000000, v10
	v_cmp_ne_u32_e32 vcc, v10, v11
	v_lshlrev_b32_e32 v4, 2, v4
	s_and_saveexec_b64 s[34:35], vcc
	s_cbranch_execz .LBB41_66
; %bb.65:                               ;   in Loop: Header=BB41_2 Depth=1
	ds_write_b32 v62, v53 offset:2560
	ds_write_b32 v4, v53 offset:3840
.LBB41_66:                              ;   in Loop: Header=BB41_2 Depth=1
	s_or_b64 exec, exec, s[34:35]
	v_xor_b32_e32 v62, 0x80000000, v9
	v_cmp_ne_u32_e32 vcc, v9, v10
	v_lshlrev_b32_e32 v62, 2, v62
	s_and_saveexec_b64 s[34:35], vcc
	s_cbranch_execz .LBB41_68
; %bb.67:                               ;   in Loop: Header=BB41_2 Depth=1
	ds_write_b32 v4, v54 offset:2560
	ds_write_b32 v62, v54 offset:3840
.LBB41_68:                              ;   in Loop: Header=BB41_2 Depth=1
	s_or_b64 exec, exec, s[34:35]
	v_xor_b32_e32 v4, 0x80000000, v8
	v_cmp_ne_u32_e32 vcc, v8, v9
	v_lshlrev_b32_e32 v4, 2, v4
	s_and_saveexec_b64 s[34:35], vcc
	s_cbranch_execz .LBB41_70
; %bb.69:                               ;   in Loop: Header=BB41_2 Depth=1
	ds_write_b32 v62, v55 offset:2560
	ds_write_b32 v4, v55 offset:3840
.LBB41_70:                              ;   in Loop: Header=BB41_2 Depth=1
	s_or_b64 exec, exec, s[34:35]
	v_xor_b32_e32 v62, 0x80000000, v7
	v_cmp_ne_u32_e32 vcc, v7, v8
	v_lshlrev_b32_e32 v62, 2, v62
	s_and_saveexec_b64 s[34:35], vcc
	s_cbranch_execz .LBB41_72
; %bb.71:                               ;   in Loop: Header=BB41_2 Depth=1
	ds_write_b32 v4, v56 offset:2560
	ds_write_b32 v62, v56 offset:3840
.LBB41_72:                              ;   in Loop: Header=BB41_2 Depth=1
	s_or_b64 exec, exec, s[34:35]
	v_xor_b32_e32 v4, 0x80000000, v6
	v_cmp_ne_u32_e32 vcc, v6, v7
	v_lshlrev_b32_e32 v4, 2, v4
	s_and_saveexec_b64 s[34:35], vcc
	s_cbranch_execz .LBB41_74
; %bb.73:                               ;   in Loop: Header=BB41_2 Depth=1
	ds_write_b32 v62, v57 offset:2560
	ds_write_b32 v4, v57 offset:3840
.LBB41_74:                              ;   in Loop: Header=BB41_2 Depth=1
	s_or_b64 exec, exec, s[34:35]
	v_xor_b32_e32 v62, 0x80000000, v1
	v_cmp_ne_u32_e32 vcc, v1, v6
	v_lshlrev_b32_e32 v63, 2, v62
	s_and_saveexec_b64 s[34:35], vcc
	s_cbranch_execz .LBB41_76
; %bb.75:                               ;   in Loop: Header=BB41_2 Depth=1
	ds_write_b32 v4, v58 offset:2560
	ds_write_b32 v63, v58 offset:3840
.LBB41_76:                              ;   in Loop: Header=BB41_2 Depth=1
	s_or_b64 exec, exec, s[34:35]
	v_xor_b32_e32 v62, 0x80000000, v0
	v_cmp_ne_u32_e32 vcc, v0, v1
	v_lshlrev_b32_e32 v4, 2, v62
	s_and_saveexec_b64 s[34:35], vcc
	s_cbranch_execz .LBB41_78
; %bb.77:                               ;   in Loop: Header=BB41_2 Depth=1
	ds_write_b32 v63, v59 offset:2560
	ds_write_b32 v4, v59 offset:3840
.LBB41_78:                              ;   in Loop: Header=BB41_2 Depth=1
	s_or_b64 exec, exec, s[34:35]
	s_waitcnt lgkmcnt(0)
	s_barrier
	s_and_saveexec_b64 s[34:35], s[24:25]
	s_cbranch_execz .LBB41_81
; %bb.79:                               ;   in Loop: Header=BB41_2 Depth=1
	ds_read_b32 v63, v60
	s_waitcnt lgkmcnt(0)
	v_cmp_ne_u32_e32 vcc, v63, v62
	s_and_b64 exec, exec, vcc
	s_cbranch_execz .LBB41_81
; %bb.80:                               ;   in Loop: Header=BB41_2 Depth=1
	ds_write_b32 v4, v3 offset:2560
	ds_read_b32 v62, v60
	s_waitcnt lgkmcnt(0)
	v_lshlrev_b32_e32 v62, 2, v62
	ds_write_b32 v62, v3 offset:3840
.LBB41_81:                              ;   in Loop: Header=BB41_2 Depth=1
	s_or_b64 exec, exec, s[34:35]
	s_waitcnt lgkmcnt(0)
	s_barrier
	s_and_saveexec_b64 s[34:35], s[22:23]
	s_cbranch_execz .LBB41_83
; %bb.82:                               ;   in Loop: Header=BB41_2 Depth=1
	ds_write_b32 v4, v5 offset:2560
.LBB41_83:                              ;   in Loop: Header=BB41_2 Depth=1
	s_or_b64 exec, exec, s[34:35]
	s_waitcnt lgkmcnt(0)
	s_barrier
	s_and_saveexec_b64 s[34:35], s[0:1]
	s_cbranch_execz .LBB41_1
; %bb.84:                               ;   in Loop: Header=BB41_2 Depth=1
	ds_read2st64_b32 v[62:63], v42 offset0:10 offset1:15
	ds_read_b32 v4, v39
	s_waitcnt lgkmcnt(1)
	v_sub_u32_e32 v62, v63, v62
	s_waitcnt lgkmcnt(0)
	v_add_u32_e32 v4, v62, v4
	ds_write_b32 v39, v4
	s_branch .LBB41_1
.LBB41_85:
	s_and_saveexec_b64 s[2:3], s[0:1]
	s_cbranch_execz .LBB41_87
; %bb.86:
	ds_read_b32 v4, v39
	v_mov_b32_e32 v0, s38
	v_mov_b32_e32 v1, s39
	;; [unrolled: 1-line block ×3, first 2 shown]
	v_lshl_add_u64 v[0:1], v[2:3], 2, v[0:1]
	s_waitcnt lgkmcnt(0)
	global_store_dword v[0:1], v4, off
.LBB41_87:
	s_endpgm
	.section	.rodata,"a",@progbits
	.p2align	6, 0x0
	.amdhsa_kernel _Z6kernelI9histogramILN6hipcub23BlockHistogramAlgorithmE1EEiLj320ELj16ELj320ELj100EEvPKT0_PS4_
		.amdhsa_group_segment_fixed_size 22400
		.amdhsa_private_segment_fixed_size 0
		.amdhsa_kernarg_size 272
		.amdhsa_user_sgpr_count 2
		.amdhsa_user_sgpr_dispatch_ptr 0
		.amdhsa_user_sgpr_queue_ptr 0
		.amdhsa_user_sgpr_kernarg_segment_ptr 1
		.amdhsa_user_sgpr_dispatch_id 0
		.amdhsa_user_sgpr_kernarg_preload_length 0
		.amdhsa_user_sgpr_kernarg_preload_offset 0
		.amdhsa_user_sgpr_private_segment_size 0
		.amdhsa_uses_dynamic_stack 0
		.amdhsa_enable_private_segment 0
		.amdhsa_system_sgpr_workgroup_id_x 1
		.amdhsa_system_sgpr_workgroup_id_y 0
		.amdhsa_system_sgpr_workgroup_id_z 0
		.amdhsa_system_sgpr_workgroup_info 0
		.amdhsa_system_vgpr_workitem_id 2
		.amdhsa_next_free_vgpr 114
		.amdhsa_next_free_sgpr 42
		.amdhsa_accum_offset 116
		.amdhsa_reserve_vcc 1
		.amdhsa_float_round_mode_32 0
		.amdhsa_float_round_mode_16_64 0
		.amdhsa_float_denorm_mode_32 3
		.amdhsa_float_denorm_mode_16_64 3
		.amdhsa_dx10_clamp 1
		.amdhsa_ieee_mode 1
		.amdhsa_fp16_overflow 0
		.amdhsa_tg_split 0
		.amdhsa_exception_fp_ieee_invalid_op 0
		.amdhsa_exception_fp_denorm_src 0
		.amdhsa_exception_fp_ieee_div_zero 0
		.amdhsa_exception_fp_ieee_overflow 0
		.amdhsa_exception_fp_ieee_underflow 0
		.amdhsa_exception_fp_ieee_inexact 0
		.amdhsa_exception_int_div_zero 0
	.end_amdhsa_kernel
	.section	.text._Z6kernelI9histogramILN6hipcub23BlockHistogramAlgorithmE1EEiLj320ELj16ELj320ELj100EEvPKT0_PS4_,"axG",@progbits,_Z6kernelI9histogramILN6hipcub23BlockHistogramAlgorithmE1EEiLj320ELj16ELj320ELj100EEvPKT0_PS4_,comdat
.Lfunc_end41:
	.size	_Z6kernelI9histogramILN6hipcub23BlockHistogramAlgorithmE1EEiLj320ELj16ELj320ELj100EEvPKT0_PS4_, .Lfunc_end41-_Z6kernelI9histogramILN6hipcub23BlockHistogramAlgorithmE1EEiLj320ELj16ELj320ELj100EEvPKT0_PS4_
                                        ; -- End function
	.section	.AMDGPU.csdata,"",@progbits
; Kernel info:
; codeLenInByte = 10556
; NumSgprs: 48
; NumVgprs: 114
; NumAgprs: 0
; TotalNumVgprs: 114
; ScratchSize: 0
; MemoryBound: 0
; FloatMode: 240
; IeeeMode: 1
; LDSByteSize: 22400 bytes/workgroup (compile time only)
; SGPRBlocks: 5
; VGPRBlocks: 14
; NumSGPRsForWavesPerEU: 48
; NumVGPRsForWavesPerEU: 114
; AccumOffset: 116
; Occupancy: 3
; WaveLimiterHint : 0
; COMPUTE_PGM_RSRC2:SCRATCH_EN: 0
; COMPUTE_PGM_RSRC2:USER_SGPR: 2
; COMPUTE_PGM_RSRC2:TRAP_HANDLER: 0
; COMPUTE_PGM_RSRC2:TGID_X_EN: 1
; COMPUTE_PGM_RSRC2:TGID_Y_EN: 0
; COMPUTE_PGM_RSRC2:TGID_Z_EN: 0
; COMPUTE_PGM_RSRC2:TIDIG_COMP_CNT: 2
; COMPUTE_PGM_RSRC3_GFX90A:ACCUM_OFFSET: 28
; COMPUTE_PGM_RSRC3_GFX90A:TG_SPLIT: 0
	.section	.text._Z6kernelI9histogramILN6hipcub23BlockHistogramAlgorithmE1EEiLj512ELj1ELj512ELj100EEvPKT0_PS4_,"axG",@progbits,_Z6kernelI9histogramILN6hipcub23BlockHistogramAlgorithmE1EEiLj512ELj1ELj512ELj100EEvPKT0_PS4_,comdat
	.protected	_Z6kernelI9histogramILN6hipcub23BlockHistogramAlgorithmE1EEiLj512ELj1ELj512ELj100EEvPKT0_PS4_ ; -- Begin function _Z6kernelI9histogramILN6hipcub23BlockHistogramAlgorithmE1EEiLj512ELj1ELj512ELj100EEvPKT0_PS4_
	.globl	_Z6kernelI9histogramILN6hipcub23BlockHistogramAlgorithmE1EEiLj512ELj1ELj512ELj100EEvPKT0_PS4_
	.p2align	8
	.type	_Z6kernelI9histogramILN6hipcub23BlockHistogramAlgorithmE1EEiLj512ELj1ELj512ELj100EEvPKT0_PS4_,@function
_Z6kernelI9histogramILN6hipcub23BlockHistogramAlgorithmE1EEiLj512ELj1ELj512ELj100EEvPKT0_PS4_: ; @_Z6kernelI9histogramILN6hipcub23BlockHistogramAlgorithmE1EEiLj512ELj1ELj512ELj100EEvPKT0_PS4_
; %bb.0:
	s_load_dwordx4 s[36:39], s[0:1], 0x0
	s_load_dword s30, s[0:1], 0x1c
	s_lshl_b32 s0, s2, 9
	v_and_b32_e32 v6, 0x3ff, v0
	v_mov_b32_e32 v9, 0
	s_waitcnt lgkmcnt(0)
	v_mov_b32_e32 v2, s36
	v_mov_b32_e32 v3, s37
	v_or_b32_e32 v4, s0, v6
	v_mov_b32_e32 v5, v9
	v_lshl_add_u64 v[2:3], v[4:5], 2, v[2:3]
	global_load_dword v2, v[2:3], off
	v_mbcnt_lo_u32_b32 v1, -1, 0
	v_mbcnt_hi_u32_b32 v1, -1, v1
	v_bfe_u32 v8, v0, 10, 10
	v_bfe_u32 v0, v0, 20, 10
	v_add_u32_e32 v24, -1, v1
	v_and_b32_e32 v25, 64, v1
	s_lshr_b32 s31, s30, 16
	s_movk_i32 s0, 0x200
	s_mov_b32 s36, 0
	v_mov_b32_e32 v3, 0x2020
	v_mov_b32_e32 v7, 30
	v_lshlrev_b32_e32 v20, 4, v6
	v_and_b32_e32 v21, 15, v1
	v_and_b32_e32 v22, 16, v1
	;; [unrolled: 1-line block ×3, first 2 shown]
	v_lshrrev_b32_e32 v26, 4, v6
	v_cmp_lt_i32_e64 s[22:23], v24, v25
	s_and_b32 s30, s30, 0xffff
	v_mad_u32_u24 v0, v0, s31, v8
	s_mov_b32 s37, s36
	s_mov_b32 s40, s36
	;; [unrolled: 1-line block ×3, first 2 shown]
	v_cmp_gt_u32_e32 vcc, s0, v6
	v_cmp_lt_u32_e64 s[0:1], 31, v1
	v_cmp_eq_u32_e64 s[6:7], 0, v1
	v_and_b32_e32 v27, 7, v1
	v_lshl_add_u32 v19, v6, 2, v3
	v_cmp_eq_u32_e64 s[12:13], 0, v21
	v_cmp_lt_u32_e64 s[14:15], 1, v21
	v_cmp_lt_u32_e64 s[16:17], 3, v21
	;; [unrolled: 1-line block ×3, first 2 shown]
	v_cmp_eq_u32_e64 s[20:21], 0, v22
	v_or_b32_e32 v3, 63, v23
	v_cndmask_b32_e64 v24, v24, v1, s[22:23]
	v_and_b32_e32 v21, 28, v26
	v_mad_i32_i24 v22, v6, -12, v20
	v_add_lshl_u32 v23, v1, v23, 2
	v_mad_u64_u32 v[0:1], s[30:31], v0, s30, v[6:7]
	s_movk_i32 s33, 0x64
	v_mov_b32_e32 v5, 0x200
	v_mov_b32_e32 v14, 29
	;; [unrolled: 1-line block ×6, first 2 shown]
	v_cmp_gt_u32_e64 s[2:3], 8, v6
	v_cmp_lt_u32_e64 s[4:5], 63, v6
	v_cmp_eq_u32_e64 s[8:9], 0, v6
	v_cmp_ne_u32_e64 s[10:11], 0, v6
	v_mov_b64_e32 v[10:11], s[36:37]
	v_mov_b64_e32 v[12:13], s[40:41]
	v_cmp_eq_u32_e64 s[22:23], 0, v27
	v_cmp_lt_u32_e64 s[24:25], 1, v27
	v_cmp_lt_u32_e64 s[26:27], 3, v27
	v_cmp_eq_u32_e64 s[28:29], v3, v6
	v_lshlrev_b32_e32 v24, 2, v24
	v_add_u32_e32 v25, -4, v21
	v_add_u32_e32 v26, -4, v22
	v_lshrrev_b32_e32 v27, 6, v0
	v_mov_b32_e32 v28, 24
	s_waitcnt vmcnt(0)
	v_xor_b32_e32 v29, 0x80000000, v2
	s_branch .LBB42_2
.LBB42_1:                               ;   in Loop: Header=BB42_2 Depth=1
	s_or_b64 exec, exec, s[30:31]
	s_add_i32 s33, s33, -1
	s_cmp_eq_u32 s33, 0
	s_cbranch_scc1 .LBB42_45
.LBB42_2:                               ; =>This Inner Loop Header: Depth=1
	s_and_saveexec_b64 s[30:31], vcc
	s_cbranch_execz .LBB42_4
; %bb.3:                                ;   in Loop: Header=BB42_2 Depth=1
	ds_write_b32 v19, v9
.LBB42_4:                               ;   in Loop: Header=BB42_2 Depth=1
	s_or_b64 exec, exec, s[30:31]
	v_and_b32_e32 v0, 0xff, v29
	v_lshl_add_u32 v0, v0, 3, v27
	v_and_b32_e32 v8, 1, v29
	v_lshl_add_u32 v30, v0, 2, 32
	v_lshl_add_u64 v[0:1], v[8:9], 0, -1
	v_cmp_ne_u32_e64 s[30:31], 0, v8
	s_waitcnt lgkmcnt(0)
	s_barrier
	v_xor_b32_e32 v1, s31, v1
	v_xor_b32_e32 v0, s30, v0
	v_and_b32_e32 v2, exec_hi, v1
	v_and_b32_e32 v3, exec_lo, v0
	v_lshlrev_b32_e32 v1, 30, v29
	v_mov_b32_e32 v0, v9
	v_cmp_gt_i64_e64 s[30:31], 0, v[0:1]
	v_not_b32_e32 v0, v1
	v_ashrrev_i32_e32 v0, 31, v0
	v_xor_b32_e32 v1, s31, v0
	v_xor_b32_e32 v0, s30, v0
	v_and_b32_e32 v2, v2, v1
	v_and_b32_e32 v3, v3, v0
	v_lshlrev_b32_e32 v1, 29, v29
	v_mov_b32_e32 v0, v9
	v_cmp_gt_i64_e64 s[30:31], 0, v[0:1]
	v_not_b32_e32 v0, v1
	v_ashrrev_i32_e32 v0, 31, v0
	v_xor_b32_e32 v1, s31, v0
	v_xor_b32_e32 v0, s30, v0
	v_and_b32_e32 v2, v2, v1
	v_and_b32_e32 v3, v3, v0
	;; [unrolled: 9-line block ×7, first 2 shown]
	v_mbcnt_lo_u32_b32 v2, v0, 0
	v_mbcnt_hi_u32_b32 v8, v1, v2
	v_cmp_eq_u32_e64 s[30:31], 0, v8
	v_cmp_ne_u64_e64 s[34:35], 0, v[0:1]
	s_and_b64 s[34:35], s[34:35], s[30:31]
	ds_write2_b64 v20, v[10:11], v[12:13] offset0:4 offset1:5
	s_waitcnt lgkmcnt(0)
	s_barrier
	s_waitcnt lgkmcnt(0)
	; wave barrier
	s_and_saveexec_b64 s[30:31], s[34:35]
	s_cbranch_execz .LBB42_6
; %bb.5:                                ;   in Loop: Header=BB42_2 Depth=1
	v_bcnt_u32_b32 v0, v0, 0
	v_bcnt_u32_b32 v0, v1, v0
	ds_write_b32 v30, v0
.LBB42_6:                               ;   in Loop: Header=BB42_2 Depth=1
	s_or_b64 exec, exec, s[30:31]
	; wave barrier
	s_waitcnt lgkmcnt(0)
	s_barrier
	ds_read2_b64 v[0:3], v20 offset0:4 offset1:5
	s_waitcnt lgkmcnt(0)
	v_add_u32_e32 v31, v1, v0
	v_add3_u32 v3, v31, v2, v3
	s_nop 1
	v_mov_b32_dpp v31, v3 row_shr:1 row_mask:0xf bank_mask:0xf
	v_cndmask_b32_e64 v31, v31, 0, s[12:13]
	v_add_u32_e32 v3, v31, v3
	s_nop 1
	v_mov_b32_dpp v31, v3 row_shr:2 row_mask:0xf bank_mask:0xf
	v_cndmask_b32_e64 v31, 0, v31, s[14:15]
	v_add_u32_e32 v3, v3, v31
	;; [unrolled: 4-line block ×4, first 2 shown]
	s_nop 1
	v_mov_b32_dpp v31, v3 row_bcast:15 row_mask:0xf bank_mask:0xf
	v_cndmask_b32_e64 v31, v31, 0, s[20:21]
	v_add_u32_e32 v3, v3, v31
	s_nop 1
	v_mov_b32_dpp v31, v3 row_bcast:31 row_mask:0xf bank_mask:0xf
	v_cndmask_b32_e64 v31, 0, v31, s[0:1]
	v_add_u32_e32 v3, v3, v31
	s_and_saveexec_b64 s[30:31], s[28:29]
	s_cbranch_execz .LBB42_8
; %bb.7:                                ;   in Loop: Header=BB42_2 Depth=1
	ds_write_b32 v21, v3
.LBB42_8:                               ;   in Loop: Header=BB42_2 Depth=1
	s_or_b64 exec, exec, s[30:31]
	s_waitcnt lgkmcnt(0)
	s_barrier
	s_and_saveexec_b64 s[30:31], s[2:3]
	s_cbranch_execz .LBB42_10
; %bb.9:                                ;   in Loop: Header=BB42_2 Depth=1
	ds_read_b32 v31, v22
	s_waitcnt lgkmcnt(0)
	s_nop 0
	v_mov_b32_dpp v32, v31 row_shr:1 row_mask:0xf bank_mask:0xf
	v_cndmask_b32_e64 v32, v32, 0, s[22:23]
	v_add_u32_e32 v31, v32, v31
	s_nop 1
	v_mov_b32_dpp v32, v31 row_shr:2 row_mask:0xf bank_mask:0xf
	v_cndmask_b32_e64 v32, 0, v32, s[24:25]
	v_add_u32_e32 v31, v31, v32
	;; [unrolled: 4-line block ×3, first 2 shown]
	ds_write_b32 v22, v31
.LBB42_10:                              ;   in Loop: Header=BB42_2 Depth=1
	s_or_b64 exec, exec, s[30:31]
	v_mov_b32_e32 v31, 0
	s_waitcnt lgkmcnt(0)
	s_barrier
	s_and_saveexec_b64 s[30:31], s[4:5]
	s_cbranch_execz .LBB42_12
; %bb.11:                               ;   in Loop: Header=BB42_2 Depth=1
	ds_read_b32 v31, v25
.LBB42_12:                              ;   in Loop: Header=BB42_2 Depth=1
	s_or_b64 exec, exec, s[30:31]
	s_waitcnt lgkmcnt(0)
	v_add_u32_e32 v3, v31, v3
	ds_bpermute_b32 v3, v24, v3
	s_waitcnt lgkmcnt(0)
	v_cndmask_b32_e64 v3, v3, v31, s[6:7]
	v_cndmask_b32_e64 v32, v3, 0, s[8:9]
	v_add_u32_e32 v33, v32, v0
	v_add_u32_e32 v0, v33, v1
	;; [unrolled: 1-line block ×3, first 2 shown]
	ds_write2_b64 v20, v[32:33], v[0:1] offset0:4 offset1:5
	s_waitcnt lgkmcnt(0)
	s_barrier
	ds_read_b32 v0, v30
	v_lshlrev_b32_e32 v1, 2, v8
	s_waitcnt lgkmcnt(0)
	s_barrier
	v_lshl_add_u32 v0, v0, 2, v1
	ds_write_b32 v0, v29
	s_waitcnt lgkmcnt(0)
	s_barrier
	ds_read_b32 v29, v23
	v_mov_b64_e32 v[0:1], s[36:37]
	v_mov_b64_e32 v[2:3], s[40:41]
	s_waitcnt lgkmcnt(0)
	s_barrier
	ds_write2_b64 v20, v[0:1], v[2:3] offset0:4 offset1:5
	v_bfe_u32 v0, v29, 8, 8
	v_lshl_add_u32 v0, v0, 3, v27
	v_bfe_u32 v8, v29, 8, 1
	v_lshl_add_u32 v30, v0, 2, 32
	v_lshl_add_u64 v[0:1], v[8:9], 0, -1
	v_cmp_ne_u32_e64 s[30:31], 0, v8
	v_lshrrev_b32_e32 v2, 8, v29
	s_waitcnt lgkmcnt(0)
	v_xor_b32_e32 v1, s31, v1
	v_xor_b32_e32 v0, s30, v0
	v_and_b32_e32 v3, exec_hi, v1
	v_and_b32_e32 v8, exec_lo, v0
	v_lshlrev_b32_e32 v1, 30, v2
	v_mov_b32_e32 v0, v9
	v_cmp_gt_i64_e64 s[30:31], 0, v[0:1]
	v_not_b32_e32 v0, v1
	v_ashrrev_i32_e32 v0, 31, v0
	v_xor_b32_e32 v1, s31, v0
	v_xor_b32_e32 v0, s30, v0
	v_and_b32_e32 v3, v3, v1
	v_and_b32_e32 v8, v8, v0
	v_lshlrev_b32_e32 v1, 29, v2
	v_mov_b32_e32 v0, v9
	v_cmp_gt_i64_e64 s[30:31], 0, v[0:1]
	v_not_b32_e32 v0, v1
	v_ashrrev_i32_e32 v0, 31, v0
	v_xor_b32_e32 v1, s31, v0
	v_xor_b32_e32 v0, s30, v0
	v_and_b32_e32 v3, v3, v1
	v_and_b32_e32 v8, v8, v0
	;; [unrolled: 9-line block ×7, first 2 shown]
	v_mbcnt_lo_u32_b32 v2, v0, 0
	v_mbcnt_hi_u32_b32 v8, v1, v2
	v_cmp_eq_u32_e64 s[30:31], 0, v8
	v_cmp_ne_u64_e64 s[34:35], 0, v[0:1]
	s_and_b64 s[34:35], s[34:35], s[30:31]
	s_barrier
	s_waitcnt lgkmcnt(0)
	; wave barrier
	s_and_saveexec_b64 s[30:31], s[34:35]
	s_cbranch_execz .LBB42_14
; %bb.13:                               ;   in Loop: Header=BB42_2 Depth=1
	v_bcnt_u32_b32 v0, v0, 0
	v_bcnt_u32_b32 v0, v1, v0
	ds_write_b32 v30, v0
.LBB42_14:                              ;   in Loop: Header=BB42_2 Depth=1
	s_or_b64 exec, exec, s[30:31]
	; wave barrier
	s_waitcnt lgkmcnt(0)
	s_barrier
	ds_read2_b64 v[0:3], v20 offset0:4 offset1:5
	s_waitcnt lgkmcnt(0)
	v_add_u32_e32 v31, v1, v0
	v_add3_u32 v3, v31, v2, v3
	s_nop 1
	v_mov_b32_dpp v31, v3 row_shr:1 row_mask:0xf bank_mask:0xf
	v_cndmask_b32_e64 v31, v31, 0, s[12:13]
	v_add_u32_e32 v3, v31, v3
	s_nop 1
	v_mov_b32_dpp v31, v3 row_shr:2 row_mask:0xf bank_mask:0xf
	v_cndmask_b32_e64 v31, 0, v31, s[14:15]
	v_add_u32_e32 v3, v3, v31
	;; [unrolled: 4-line block ×4, first 2 shown]
	s_nop 1
	v_mov_b32_dpp v31, v3 row_bcast:15 row_mask:0xf bank_mask:0xf
	v_cndmask_b32_e64 v31, v31, 0, s[20:21]
	v_add_u32_e32 v3, v3, v31
	s_nop 1
	v_mov_b32_dpp v31, v3 row_bcast:31 row_mask:0xf bank_mask:0xf
	v_cndmask_b32_e64 v31, 0, v31, s[0:1]
	v_add_u32_e32 v3, v3, v31
	s_and_saveexec_b64 s[30:31], s[28:29]
	s_cbranch_execz .LBB42_16
; %bb.15:                               ;   in Loop: Header=BB42_2 Depth=1
	ds_write_b32 v21, v3
.LBB42_16:                              ;   in Loop: Header=BB42_2 Depth=1
	s_or_b64 exec, exec, s[30:31]
	s_waitcnt lgkmcnt(0)
	s_barrier
	s_and_saveexec_b64 s[30:31], s[2:3]
	s_cbranch_execz .LBB42_18
; %bb.17:                               ;   in Loop: Header=BB42_2 Depth=1
	ds_read_b32 v31, v22
	s_waitcnt lgkmcnt(0)
	s_nop 0
	v_mov_b32_dpp v32, v31 row_shr:1 row_mask:0xf bank_mask:0xf
	v_cndmask_b32_e64 v32, v32, 0, s[22:23]
	v_add_u32_e32 v31, v32, v31
	s_nop 1
	v_mov_b32_dpp v32, v31 row_shr:2 row_mask:0xf bank_mask:0xf
	v_cndmask_b32_e64 v32, 0, v32, s[24:25]
	v_add_u32_e32 v31, v31, v32
	;; [unrolled: 4-line block ×3, first 2 shown]
	ds_write_b32 v22, v31
.LBB42_18:                              ;   in Loop: Header=BB42_2 Depth=1
	s_or_b64 exec, exec, s[30:31]
	v_mov_b32_e32 v31, 0
	s_waitcnt lgkmcnt(0)
	s_barrier
	s_and_saveexec_b64 s[30:31], s[4:5]
	s_cbranch_execz .LBB42_20
; %bb.19:                               ;   in Loop: Header=BB42_2 Depth=1
	ds_read_b32 v31, v25
.LBB42_20:                              ;   in Loop: Header=BB42_2 Depth=1
	s_or_b64 exec, exec, s[30:31]
	s_waitcnt lgkmcnt(0)
	v_add_u32_e32 v3, v31, v3
	ds_bpermute_b32 v3, v24, v3
	s_waitcnt lgkmcnt(0)
	v_cndmask_b32_e64 v3, v3, v31, s[6:7]
	v_cndmask_b32_e64 v32, v3, 0, s[8:9]
	v_add_u32_e32 v33, v32, v0
	v_add_u32_e32 v0, v33, v1
	;; [unrolled: 1-line block ×3, first 2 shown]
	ds_write2_b64 v20, v[32:33], v[0:1] offset0:4 offset1:5
	s_waitcnt lgkmcnt(0)
	s_barrier
	ds_read_b32 v0, v30
	v_lshlrev_b32_e32 v1, 2, v8
	s_waitcnt lgkmcnt(0)
	s_barrier
	v_lshl_add_u32 v0, v0, 2, v1
	ds_write_b32 v0, v29
	s_waitcnt lgkmcnt(0)
	s_barrier
	ds_read_b32 v29, v23
	v_mov_b64_e32 v[0:1], s[36:37]
	v_mov_b64_e32 v[2:3], s[40:41]
	s_waitcnt lgkmcnt(0)
	s_barrier
	ds_write2_b64 v20, v[0:1], v[2:3] offset0:4 offset1:5
	v_bfe_u32 v0, v29, 16, 8
	v_lshl_add_u32 v0, v0, 3, v27
	v_bfe_u32 v8, v29, 16, 1
	v_lshl_add_u32 v30, v0, 2, 32
	v_lshl_add_u64 v[0:1], v[8:9], 0, -1
	v_cmp_ne_u32_e64 s[30:31], 0, v8
	s_waitcnt lgkmcnt(0)
	s_barrier
	v_xor_b32_e32 v1, s31, v1
	v_xor_b32_e32 v0, s30, v0
	v_and_b32_e32 v2, exec_hi, v1
	v_and_b32_e32 v3, exec_lo, v0
	v_lshlrev_b32_sdwa v1, v7, v29 dst_sel:DWORD dst_unused:UNUSED_PAD src0_sel:DWORD src1_sel:WORD_1
	v_mov_b32_e32 v0, v9
	v_cmp_gt_i64_e64 s[30:31], 0, v[0:1]
	v_not_b32_e32 v0, v1
	v_ashrrev_i32_e32 v0, 31, v0
	v_xor_b32_e32 v1, s31, v0
	v_xor_b32_e32 v0, s30, v0
	v_and_b32_e32 v2, v2, v1
	v_and_b32_e32 v3, v3, v0
	v_lshlrev_b32_sdwa v1, v14, v29 dst_sel:DWORD dst_unused:UNUSED_PAD src0_sel:DWORD src1_sel:WORD_1
	v_mov_b32_e32 v0, v9
	v_cmp_gt_i64_e64 s[30:31], 0, v[0:1]
	v_not_b32_e32 v0, v1
	v_ashrrev_i32_e32 v0, 31, v0
	v_xor_b32_e32 v1, s31, v0
	v_xor_b32_e32 v0, s30, v0
	v_and_b32_e32 v2, v2, v1
	v_and_b32_e32 v3, v3, v0
	v_lshlrev_b32_sdwa v1, v15, v29 dst_sel:DWORD dst_unused:UNUSED_PAD src0_sel:DWORD src1_sel:WORD_1
	v_mov_b32_e32 v0, v9
	v_cmp_gt_i64_e64 s[30:31], 0, v[0:1]
	v_not_b32_e32 v0, v1
	v_ashrrev_i32_e32 v0, 31, v0
	v_xor_b32_e32 v1, s31, v0
	v_xor_b32_e32 v0, s30, v0
	v_and_b32_e32 v2, v2, v1
	v_and_b32_e32 v3, v3, v0
	v_lshlrev_b32_sdwa v1, v16, v29 dst_sel:DWORD dst_unused:UNUSED_PAD src0_sel:DWORD src1_sel:WORD_1
	v_mov_b32_e32 v0, v9
	v_cmp_gt_i64_e64 s[30:31], 0, v[0:1]
	v_not_b32_e32 v0, v1
	v_ashrrev_i32_e32 v0, 31, v0
	v_xor_b32_e32 v1, s31, v0
	v_xor_b32_e32 v0, s30, v0
	v_and_b32_e32 v2, v2, v1
	v_and_b32_e32 v3, v3, v0
	v_lshlrev_b32_sdwa v1, v17, v29 dst_sel:DWORD dst_unused:UNUSED_PAD src0_sel:DWORD src1_sel:WORD_1
	v_mov_b32_e32 v0, v9
	v_cmp_gt_i64_e64 s[30:31], 0, v[0:1]
	v_not_b32_e32 v0, v1
	v_ashrrev_i32_e32 v0, 31, v0
	v_xor_b32_e32 v1, s31, v0
	v_xor_b32_e32 v0, s30, v0
	v_and_b32_e32 v2, v2, v1
	v_and_b32_e32 v3, v3, v0
	v_lshlrev_b32_sdwa v1, v18, v29 dst_sel:DWORD dst_unused:UNUSED_PAD src0_sel:DWORD src1_sel:WORD_1
	v_mov_b32_e32 v0, v9
	v_cmp_gt_i64_e64 s[30:31], 0, v[0:1]
	v_not_b32_e32 v0, v1
	v_ashrrev_i32_e32 v0, 31, v0
	v_xor_b32_e32 v1, s31, v0
	v_xor_b32_e32 v0, s30, v0
	v_and_b32_e32 v2, v2, v1
	v_and_b32_e32 v3, v3, v0
	v_lshlrev_b32_sdwa v1, v28, v29 dst_sel:DWORD dst_unused:UNUSED_PAD src0_sel:DWORD src1_sel:WORD_1
	v_mov_b32_e32 v0, v9
	v_cmp_gt_i64_e64 s[30:31], 0, v[0:1]
	v_not_b32_e32 v0, v1
	v_ashrrev_i32_e32 v0, 31, v0
	v_xor_b32_e32 v1, s31, v0
	v_xor_b32_e32 v0, s30, v0
	v_and_b32_e32 v0, v3, v0
	v_and_b32_e32 v1, v2, v1
	v_mbcnt_lo_u32_b32 v2, v0, 0
	v_mbcnt_hi_u32_b32 v8, v1, v2
	v_cmp_eq_u32_e64 s[30:31], 0, v8
	v_cmp_ne_u64_e64 s[34:35], 0, v[0:1]
	s_and_b64 s[34:35], s[34:35], s[30:31]
	s_waitcnt lgkmcnt(0)
	; wave barrier
	s_and_saveexec_b64 s[30:31], s[34:35]
	s_cbranch_execz .LBB42_22
; %bb.21:                               ;   in Loop: Header=BB42_2 Depth=1
	v_bcnt_u32_b32 v0, v0, 0
	v_bcnt_u32_b32 v0, v1, v0
	ds_write_b32 v30, v0
.LBB42_22:                              ;   in Loop: Header=BB42_2 Depth=1
	s_or_b64 exec, exec, s[30:31]
	; wave barrier
	s_waitcnt lgkmcnt(0)
	s_barrier
	ds_read2_b64 v[0:3], v20 offset0:4 offset1:5
	s_waitcnt lgkmcnt(0)
	v_add_u32_e32 v31, v1, v0
	v_add3_u32 v3, v31, v2, v3
	s_nop 1
	v_mov_b32_dpp v31, v3 row_shr:1 row_mask:0xf bank_mask:0xf
	v_cndmask_b32_e64 v31, v31, 0, s[12:13]
	v_add_u32_e32 v3, v31, v3
	s_nop 1
	v_mov_b32_dpp v31, v3 row_shr:2 row_mask:0xf bank_mask:0xf
	v_cndmask_b32_e64 v31, 0, v31, s[14:15]
	v_add_u32_e32 v3, v3, v31
	;; [unrolled: 4-line block ×4, first 2 shown]
	s_nop 1
	v_mov_b32_dpp v31, v3 row_bcast:15 row_mask:0xf bank_mask:0xf
	v_cndmask_b32_e64 v31, v31, 0, s[20:21]
	v_add_u32_e32 v3, v3, v31
	s_nop 1
	v_mov_b32_dpp v31, v3 row_bcast:31 row_mask:0xf bank_mask:0xf
	v_cndmask_b32_e64 v31, 0, v31, s[0:1]
	v_add_u32_e32 v3, v3, v31
	s_and_saveexec_b64 s[30:31], s[28:29]
	s_cbranch_execz .LBB42_24
; %bb.23:                               ;   in Loop: Header=BB42_2 Depth=1
	ds_write_b32 v21, v3
.LBB42_24:                              ;   in Loop: Header=BB42_2 Depth=1
	s_or_b64 exec, exec, s[30:31]
	s_waitcnt lgkmcnt(0)
	s_barrier
	s_and_saveexec_b64 s[30:31], s[2:3]
	s_cbranch_execz .LBB42_26
; %bb.25:                               ;   in Loop: Header=BB42_2 Depth=1
	ds_read_b32 v31, v22
	s_waitcnt lgkmcnt(0)
	s_nop 0
	v_mov_b32_dpp v32, v31 row_shr:1 row_mask:0xf bank_mask:0xf
	v_cndmask_b32_e64 v32, v32, 0, s[22:23]
	v_add_u32_e32 v31, v32, v31
	s_nop 1
	v_mov_b32_dpp v32, v31 row_shr:2 row_mask:0xf bank_mask:0xf
	v_cndmask_b32_e64 v32, 0, v32, s[24:25]
	v_add_u32_e32 v31, v31, v32
	;; [unrolled: 4-line block ×3, first 2 shown]
	ds_write_b32 v22, v31
.LBB42_26:                              ;   in Loop: Header=BB42_2 Depth=1
	s_or_b64 exec, exec, s[30:31]
	v_mov_b32_e32 v31, 0
	s_waitcnt lgkmcnt(0)
	s_barrier
	s_and_saveexec_b64 s[30:31], s[4:5]
	s_cbranch_execz .LBB42_28
; %bb.27:                               ;   in Loop: Header=BB42_2 Depth=1
	ds_read_b32 v31, v25
.LBB42_28:                              ;   in Loop: Header=BB42_2 Depth=1
	s_or_b64 exec, exec, s[30:31]
	s_waitcnt lgkmcnt(0)
	v_add_u32_e32 v3, v31, v3
	ds_bpermute_b32 v3, v24, v3
	s_waitcnt lgkmcnt(0)
	v_cndmask_b32_e64 v3, v3, v31, s[6:7]
	v_cndmask_b32_e64 v32, v3, 0, s[8:9]
	v_add_u32_e32 v33, v32, v0
	v_add_u32_e32 v0, v33, v1
	;; [unrolled: 1-line block ×3, first 2 shown]
	ds_write2_b64 v20, v[32:33], v[0:1] offset0:4 offset1:5
	s_waitcnt lgkmcnt(0)
	s_barrier
	ds_read_b32 v0, v30
	v_lshlrev_b32_e32 v1, 2, v8
	s_waitcnt lgkmcnt(0)
	s_barrier
	v_lshl_add_u32 v0, v0, 2, v1
	ds_write_b32 v0, v29
	s_waitcnt lgkmcnt(0)
	s_barrier
	ds_read_b32 v29, v23
	v_mov_b64_e32 v[0:1], s[36:37]
	v_mov_b64_e32 v[2:3], s[40:41]
	s_waitcnt lgkmcnt(0)
	s_barrier
	ds_write2_b64 v20, v[0:1], v[2:3] offset0:4 offset1:5
	v_lshrrev_b32_e32 v2, 24, v29
	v_lshl_add_u32 v0, v2, 3, v27
	v_bfe_u32 v8, v29, 24, 1
	v_lshl_add_u32 v30, v0, 2, 32
	v_lshl_add_u64 v[0:1], v[8:9], 0, -1
	v_cmp_ne_u32_e64 s[30:31], 0, v8
	s_waitcnt lgkmcnt(0)
	s_barrier
	v_xor_b32_e32 v1, s31, v1
	v_xor_b32_e32 v0, s30, v0
	v_and_b32_e32 v3, exec_hi, v1
	v_and_b32_e32 v8, exec_lo, v0
	v_lshlrev_b32_e32 v1, 30, v2
	v_mov_b32_e32 v0, v9
	v_cmp_gt_i64_e64 s[30:31], 0, v[0:1]
	v_not_b32_e32 v0, v1
	v_ashrrev_i32_e32 v0, 31, v0
	v_xor_b32_e32 v1, s31, v0
	v_xor_b32_e32 v0, s30, v0
	v_and_b32_e32 v3, v3, v1
	v_and_b32_e32 v8, v8, v0
	v_lshlrev_b32_e32 v1, 29, v2
	v_mov_b32_e32 v0, v9
	v_cmp_gt_i64_e64 s[30:31], 0, v[0:1]
	v_not_b32_e32 v0, v1
	v_ashrrev_i32_e32 v0, 31, v0
	v_xor_b32_e32 v1, s31, v0
	v_xor_b32_e32 v0, s30, v0
	v_and_b32_e32 v3, v3, v1
	v_and_b32_e32 v8, v8, v0
	;; [unrolled: 9-line block ×6, first 2 shown]
	v_and_b32_e32 v1, 0xff000000, v29
	v_mov_b32_e32 v0, v9
	v_cmp_gt_i64_e64 s[30:31], 0, v[0:1]
	v_not_b32_e32 v0, v1
	v_ashrrev_i32_e32 v0, 31, v0
	v_xor_b32_e32 v1, s31, v0
	v_xor_b32_e32 v0, s30, v0
	v_and_b32_e32 v0, v3, v0
	v_and_b32_e32 v1, v2, v1
	v_mbcnt_lo_u32_b32 v2, v0, 0
	v_mbcnt_hi_u32_b32 v8, v1, v2
	v_cmp_eq_u32_e64 s[30:31], 0, v8
	v_cmp_ne_u64_e64 s[34:35], 0, v[0:1]
	s_and_b64 s[34:35], s[34:35], s[30:31]
	s_waitcnt lgkmcnt(0)
	; wave barrier
	s_and_saveexec_b64 s[30:31], s[34:35]
	s_cbranch_execz .LBB42_30
; %bb.29:                               ;   in Loop: Header=BB42_2 Depth=1
	v_bcnt_u32_b32 v0, v0, 0
	v_bcnt_u32_b32 v0, v1, v0
	ds_write_b32 v30, v0
.LBB42_30:                              ;   in Loop: Header=BB42_2 Depth=1
	s_or_b64 exec, exec, s[30:31]
	; wave barrier
	s_waitcnt lgkmcnt(0)
	s_barrier
	ds_read2_b64 v[0:3], v20 offset0:4 offset1:5
	s_waitcnt lgkmcnt(0)
	v_add_u32_e32 v31, v1, v0
	v_add3_u32 v3, v31, v2, v3
	s_nop 1
	v_mov_b32_dpp v31, v3 row_shr:1 row_mask:0xf bank_mask:0xf
	v_cndmask_b32_e64 v31, v31, 0, s[12:13]
	v_add_u32_e32 v3, v31, v3
	s_nop 1
	v_mov_b32_dpp v31, v3 row_shr:2 row_mask:0xf bank_mask:0xf
	v_cndmask_b32_e64 v31, 0, v31, s[14:15]
	v_add_u32_e32 v3, v3, v31
	;; [unrolled: 4-line block ×4, first 2 shown]
	s_nop 1
	v_mov_b32_dpp v31, v3 row_bcast:15 row_mask:0xf bank_mask:0xf
	v_cndmask_b32_e64 v31, v31, 0, s[20:21]
	v_add_u32_e32 v3, v3, v31
	s_nop 1
	v_mov_b32_dpp v31, v3 row_bcast:31 row_mask:0xf bank_mask:0xf
	v_cndmask_b32_e64 v31, 0, v31, s[0:1]
	v_add_u32_e32 v3, v3, v31
	s_and_saveexec_b64 s[30:31], s[28:29]
	s_cbranch_execz .LBB42_32
; %bb.31:                               ;   in Loop: Header=BB42_2 Depth=1
	ds_write_b32 v21, v3
.LBB42_32:                              ;   in Loop: Header=BB42_2 Depth=1
	s_or_b64 exec, exec, s[30:31]
	s_waitcnt lgkmcnt(0)
	s_barrier
	s_and_saveexec_b64 s[30:31], s[2:3]
	s_cbranch_execz .LBB42_34
; %bb.33:                               ;   in Loop: Header=BB42_2 Depth=1
	ds_read_b32 v31, v22
	s_waitcnt lgkmcnt(0)
	s_nop 0
	v_mov_b32_dpp v32, v31 row_shr:1 row_mask:0xf bank_mask:0xf
	v_cndmask_b32_e64 v32, v32, 0, s[22:23]
	v_add_u32_e32 v31, v32, v31
	s_nop 1
	v_mov_b32_dpp v32, v31 row_shr:2 row_mask:0xf bank_mask:0xf
	v_cndmask_b32_e64 v32, 0, v32, s[24:25]
	v_add_u32_e32 v31, v31, v32
	;; [unrolled: 4-line block ×3, first 2 shown]
	ds_write_b32 v22, v31
.LBB42_34:                              ;   in Loop: Header=BB42_2 Depth=1
	s_or_b64 exec, exec, s[30:31]
	v_mov_b32_e32 v31, 0
	s_waitcnt lgkmcnt(0)
	s_barrier
	s_and_saveexec_b64 s[30:31], s[4:5]
	s_cbranch_execz .LBB42_36
; %bb.35:                               ;   in Loop: Header=BB42_2 Depth=1
	ds_read_b32 v31, v25
.LBB42_36:                              ;   in Loop: Header=BB42_2 Depth=1
	s_or_b64 exec, exec, s[30:31]
	s_waitcnt lgkmcnt(0)
	v_add_u32_e32 v3, v31, v3
	ds_bpermute_b32 v3, v24, v3
	s_waitcnt lgkmcnt(0)
	v_cndmask_b32_e64 v3, v3, v31, s[6:7]
	v_cndmask_b32_e64 v32, v3, 0, s[8:9]
	v_add_u32_e32 v33, v32, v0
	v_add_u32_e32 v0, v33, v1
	v_add_u32_e32 v1, v0, v2
	ds_write2_b64 v20, v[32:33], v[0:1] offset0:4 offset1:5
	s_waitcnt lgkmcnt(0)
	s_barrier
	ds_read_b32 v0, v30
	v_lshlrev_b32_e32 v1, 2, v8
	s_waitcnt lgkmcnt(0)
	s_barrier
	v_lshl_add_u32 v0, v0, 2, v1
	ds_write_b32 v0, v29
	s_waitcnt lgkmcnt(0)
	s_barrier
	ds_read_b32 v29, v22
	s_waitcnt lgkmcnt(0)
	s_barrier
	s_and_saveexec_b64 s[30:31], vcc
	s_cbranch_execz .LBB42_38
; %bb.37:                               ;   in Loop: Header=BB42_2 Depth=1
	ds_write2st64_b32 v22, v5, v5 offset0:16 offset1:24
.LBB42_38:                              ;   in Loop: Header=BB42_2 Depth=1
	s_or_b64 exec, exec, s[30:31]
	v_xor_b32_e32 v0, 0x80000000, v29
	s_waitcnt lgkmcnt(0)
	s_barrier
	ds_write_b32 v22, v0
	s_waitcnt lgkmcnt(0)
	s_barrier
	s_and_saveexec_b64 s[34:35], s[10:11]
	s_cbranch_execz .LBB42_41
; %bb.39:                               ;   in Loop: Header=BB42_2 Depth=1
	ds_read_b32 v1, v26
	s_waitcnt lgkmcnt(0)
	v_cmp_ne_u32_e64 s[30:31], v1, v0
	s_and_b64 exec, exec, s[30:31]
	s_cbranch_execz .LBB42_41
; %bb.40:                               ;   in Loop: Header=BB42_2 Depth=1
	v_lshlrev_b32_e32 v1, 2, v0
	ds_write_b32 v1, v6 offset:4096
	ds_read_b32 v1, v26
	s_waitcnt lgkmcnt(0)
	v_lshlrev_b32_e32 v1, 2, v1
	ds_write_b32 v1, v6 offset:6144
.LBB42_41:                              ;   in Loop: Header=BB42_2 Depth=1
	s_or_b64 exec, exec, s[34:35]
	s_waitcnt lgkmcnt(0)
	s_barrier
	s_and_saveexec_b64 s[30:31], s[8:9]
	s_cbranch_execz .LBB42_43
; %bb.42:                               ;   in Loop: Header=BB42_2 Depth=1
	v_lshlrev_b32_e32 v0, 2, v0
	ds_write_b32 v0, v9 offset:4096
.LBB42_43:                              ;   in Loop: Header=BB42_2 Depth=1
	s_or_b64 exec, exec, s[30:31]
	s_waitcnt lgkmcnt(0)
	s_barrier
	s_and_saveexec_b64 s[30:31], vcc
	s_cbranch_execz .LBB42_1
; %bb.44:                               ;   in Loop: Header=BB42_2 Depth=1
	ds_read2st64_b32 v[0:1], v22 offset0:16 offset1:24
	ds_read_b32 v2, v19
	s_waitcnt lgkmcnt(1)
	v_sub_u32_e32 v0, v1, v0
	s_waitcnt lgkmcnt(0)
	v_add_u32_e32 v0, v0, v2
	ds_write_b32 v19, v0
	s_branch .LBB42_1
.LBB42_45:
	s_and_saveexec_b64 s[0:1], vcc
	s_cbranch_execz .LBB42_47
; %bb.46:
	ds_read_b32 v2, v19
	v_mov_b32_e32 v0, s38
	v_mov_b32_e32 v1, s39
	;; [unrolled: 1-line block ×3, first 2 shown]
	v_lshl_add_u64 v[0:1], v[4:5], 2, v[0:1]
	s_waitcnt lgkmcnt(0)
	global_store_dword v[0:1], v2, off
.LBB42_47:
	s_endpgm
	.section	.rodata,"a",@progbits
	.p2align	6, 0x0
	.amdhsa_kernel _Z6kernelI9histogramILN6hipcub23BlockHistogramAlgorithmE1EEiLj512ELj1ELj512ELj100EEvPKT0_PS4_
		.amdhsa_group_segment_fixed_size 10272
		.amdhsa_private_segment_fixed_size 0
		.amdhsa_kernarg_size 272
		.amdhsa_user_sgpr_count 2
		.amdhsa_user_sgpr_dispatch_ptr 0
		.amdhsa_user_sgpr_queue_ptr 0
		.amdhsa_user_sgpr_kernarg_segment_ptr 1
		.amdhsa_user_sgpr_dispatch_id 0
		.amdhsa_user_sgpr_kernarg_preload_length 0
		.amdhsa_user_sgpr_kernarg_preload_offset 0
		.amdhsa_user_sgpr_private_segment_size 0
		.amdhsa_uses_dynamic_stack 0
		.amdhsa_enable_private_segment 0
		.amdhsa_system_sgpr_workgroup_id_x 1
		.amdhsa_system_sgpr_workgroup_id_y 0
		.amdhsa_system_sgpr_workgroup_id_z 0
		.amdhsa_system_sgpr_workgroup_info 0
		.amdhsa_system_vgpr_workitem_id 2
		.amdhsa_next_free_vgpr 34
		.amdhsa_next_free_sgpr 42
		.amdhsa_accum_offset 36
		.amdhsa_reserve_vcc 1
		.amdhsa_float_round_mode_32 0
		.amdhsa_float_round_mode_16_64 0
		.amdhsa_float_denorm_mode_32 3
		.amdhsa_float_denorm_mode_16_64 3
		.amdhsa_dx10_clamp 1
		.amdhsa_ieee_mode 1
		.amdhsa_fp16_overflow 0
		.amdhsa_tg_split 0
		.amdhsa_exception_fp_ieee_invalid_op 0
		.amdhsa_exception_fp_denorm_src 0
		.amdhsa_exception_fp_ieee_div_zero 0
		.amdhsa_exception_fp_ieee_overflow 0
		.amdhsa_exception_fp_ieee_underflow 0
		.amdhsa_exception_fp_ieee_inexact 0
		.amdhsa_exception_int_div_zero 0
	.end_amdhsa_kernel
	.section	.text._Z6kernelI9histogramILN6hipcub23BlockHistogramAlgorithmE1EEiLj512ELj1ELj512ELj100EEvPKT0_PS4_,"axG",@progbits,_Z6kernelI9histogramILN6hipcub23BlockHistogramAlgorithmE1EEiLj512ELj1ELj512ELj100EEvPKT0_PS4_,comdat
.Lfunc_end42:
	.size	_Z6kernelI9histogramILN6hipcub23BlockHistogramAlgorithmE1EEiLj512ELj1ELj512ELj100EEvPKT0_PS4_, .Lfunc_end42-_Z6kernelI9histogramILN6hipcub23BlockHistogramAlgorithmE1EEiLj512ELj1ELj512ELj100EEvPKT0_PS4_
                                        ; -- End function
	.section	.AMDGPU.csdata,"",@progbits
; Kernel info:
; codeLenInByte = 4412
; NumSgprs: 48
; NumVgprs: 34
; NumAgprs: 0
; TotalNumVgprs: 34
; ScratchSize: 0
; MemoryBound: 0
; FloatMode: 240
; IeeeMode: 1
; LDSByteSize: 10272 bytes/workgroup (compile time only)
; SGPRBlocks: 5
; VGPRBlocks: 4
; NumSGPRsForWavesPerEU: 48
; NumVGPRsForWavesPerEU: 34
; AccumOffset: 36
; Occupancy: 8
; WaveLimiterHint : 0
; COMPUTE_PGM_RSRC2:SCRATCH_EN: 0
; COMPUTE_PGM_RSRC2:USER_SGPR: 2
; COMPUTE_PGM_RSRC2:TRAP_HANDLER: 0
; COMPUTE_PGM_RSRC2:TGID_X_EN: 1
; COMPUTE_PGM_RSRC2:TGID_Y_EN: 0
; COMPUTE_PGM_RSRC2:TGID_Z_EN: 0
; COMPUTE_PGM_RSRC2:TIDIG_COMP_CNT: 2
; COMPUTE_PGM_RSRC3_GFX90A:ACCUM_OFFSET: 8
; COMPUTE_PGM_RSRC3_GFX90A:TG_SPLIT: 0
	.section	.text._Z6kernelI9histogramILN6hipcub23BlockHistogramAlgorithmE1EEiLj512ELj2ELj512ELj100EEvPKT0_PS4_,"axG",@progbits,_Z6kernelI9histogramILN6hipcub23BlockHistogramAlgorithmE1EEiLj512ELj2ELj512ELj100EEvPKT0_PS4_,comdat
	.protected	_Z6kernelI9histogramILN6hipcub23BlockHistogramAlgorithmE1EEiLj512ELj2ELj512ELj100EEvPKT0_PS4_ ; -- Begin function _Z6kernelI9histogramILN6hipcub23BlockHistogramAlgorithmE1EEiLj512ELj2ELj512ELj100EEvPKT0_PS4_
	.globl	_Z6kernelI9histogramILN6hipcub23BlockHistogramAlgorithmE1EEiLj512ELj2ELj512ELj100EEvPKT0_PS4_
	.p2align	8
	.type	_Z6kernelI9histogramILN6hipcub23BlockHistogramAlgorithmE1EEiLj512ELj2ELj512ELj100EEvPKT0_PS4_,@function
_Z6kernelI9histogramILN6hipcub23BlockHistogramAlgorithmE1EEiLj512ELj2ELj512ELj100EEvPKT0_PS4_: ; @_Z6kernelI9histogramILN6hipcub23BlockHistogramAlgorithmE1EEiLj512ELj2ELj512ELj100EEvPKT0_PS4_
; %bb.0:
	s_load_dwordx4 s[40:43], s[0:1], 0x0
	s_load_dword s3, s[0:1], 0x1c
	v_and_b32_e32 v4, 0x3ff, v0
	v_lshlrev_b32_e32 v5, 1, v4
	v_lshl_or_b32 v6, s2, 10, v5
	s_waitcnt lgkmcnt(0)
	v_mov_b32_e32 v2, s40
	v_mov_b32_e32 v3, s41
	;; [unrolled: 1-line block ×3, first 2 shown]
	v_lshl_add_u64 v[2:3], v[6:7], 2, v[2:3]
	global_load_dwordx2 v[2:3], v[2:3], off
	v_mbcnt_lo_u32_b32 v1, -1, 0
	v_mbcnt_hi_u32_b32 v6, -1, v1
	v_and_b32_e32 v8, 1, v6
	v_lshrrev_b32_e32 v1, 1, v6
	v_cmp_eq_u32_e64 s[36:37], 0, v8
	v_and_b32_e32 v8, 64, v6
	v_or_b32_e32 v1, v1, v8
	v_lshlrev_b32_e32 v12, 2, v1
	s_lshr_b32 s4, s3, 16
	v_bfe_u32 v1, v0, 10, 10
	v_bfe_u32 v0, v0, 20, 10
	s_and_b32 s3, s3, 0xffff
	v_mad_u32_u24 v0, v0, s4, v1
	v_mad_u64_u32 v[0:1], s[4:5], v0, s3, v[4:5]
	v_lshrrev_b32_e32 v15, 6, v0
	v_and_b32_e32 v0, 15, v6
	v_cmp_eq_u32_e64 s[4:5], 0, v0
	v_cmp_lt_u32_e64 s[6:7], 1, v0
	v_cmp_lt_u32_e64 s[8:9], 3, v0
	;; [unrolled: 1-line block ×3, first 2 shown]
	v_and_b32_e32 v0, 16, v6
	v_cmp_eq_u32_e64 s[12:13], 0, v0
	v_or_b32_e32 v0, 63, v4
	v_cmp_eq_u32_e64 s[16:17], v0, v4
	v_add_u32_e32 v0, -1, v6
	v_cmp_lt_i32_e32 vcc, v0, v8
	s_mov_b32 s40, 0
	v_lshlrev_b32_e32 v14, 4, v4
	v_cndmask_b32_e32 v0, v0, v6, vcc
	v_lshlrev_b32_e32 v16, 2, v0
	v_lshrrev_b32_e32 v0, 4, v4
	v_and_b32_e32 v18, 28, v0
	v_and_b32_e32 v0, 7, v6
	s_movk_i32 s3, 0x380
	s_movk_i32 s0, 0x200
	v_lshlrev_b32_e32 v1, 2, v4
	v_mad_i32_i24 v19, v4, -12, v14
	v_cmp_eq_u32_e64 s[28:29], 0, v0
	v_cmp_lt_u32_e64 s[30:31], 1, v0
	v_cmp_lt_u32_e64 s[34:35], 3, v0
	v_and_or_b32 v0, v5, s3, v6
	s_mov_b32 s41, s40
	s_mov_b32 s38, s40
	;; [unrolled: 1-line block ×3, first 2 shown]
	v_cmp_gt_u32_e64 s[0:1], s0, v4
	v_xor_b32_e32 v13, 0x80, v12
	v_cmp_lt_u32_e64 s[14:15], 31, v6
	v_cmp_gt_u32_e64 s[18:19], 8, v4
	v_cmp_lt_u32_e64 s[20:21], 63, v4
	v_cmp_eq_u32_e64 s[22:23], 0, v6
	v_cmp_eq_u32_e64 s[24:25], 0, v4
	v_cmp_ne_u32_e64 s[26:27], 0, v4
	v_add_u32_e32 v20, -4, v18
	v_lshlrev_b32_e32 v21, 2, v0
	v_add_u32_e32 v22, v19, v1
	v_or_b32_e32 v23, 1, v5
	v_add_u32_e32 v17, 0x2020, v1
	v_add_u32_e32 v24, -4, v19
	v_mov_b64_e32 v[8:9], s[40:41]
	v_mov_b64_e32 v[10:11], s[38:39]
	v_mov_b32_e32 v25, 0x400
	s_branch .LBB43_2
.LBB43_1:                               ;   in Loop: Header=BB43_2 Depth=1
	s_or_b64 exec, exec, s[38:39]
	s_add_i32 s40, s40, 1
	s_cmpk_eq_i32 s40, 0x64
	s_cbranch_scc1 .LBB43_29
.LBB43_2:                               ; =>This Loop Header: Depth=1
                                        ;     Child Loop BB43_6 Depth 2
	s_and_saveexec_b64 s[38:39], s[0:1]
	s_cbranch_execz .LBB43_4
; %bb.3:                                ;   in Loop: Header=BB43_2 Depth=1
	ds_write_b32 v17, v7
.LBB43_4:                               ;   in Loop: Header=BB43_2 Depth=1
	s_or_b64 exec, exec, s[38:39]
	s_waitcnt vmcnt(0)
	v_xor_b32_e32 v0, 0x80000000, v2
	v_xor_b32_e32 v1, 0x80000000, v3
	ds_bpermute_b32 v2, v12, v0
	ds_bpermute_b32 v3, v12, v1
	;; [unrolled: 1-line block ×4, first 2 shown]
	s_mov_b32 s3, 0
	s_waitcnt lgkmcnt(0)
	v_cndmask_b32_e64 v0, v3, v2, s[36:37]
	s_barrier
	v_cndmask_b32_e64 v1, v1, v6, s[36:37]
	s_barrier
	s_branch .LBB43_6
.LBB43_5:                               ;   in Loop: Header=BB43_6 Depth=2
	v_lshlrev_b32_e32 v0, 2, v3
	s_barrier
	ds_write_b32 v0, v27
	v_lshlrev_b32_e32 v0, 2, v2
	ds_write_b32 v0, v26
	s_waitcnt lgkmcnt(0)
	s_barrier
	ds_read2st64_b32 v[0:1], v21 offset1:1
	s_add_i32 s3, s3, 8
	s_waitcnt lgkmcnt(0)
	s_barrier
	s_cbranch_execz .LBB43_18
.LBB43_6:                               ;   Parent Loop BB43_2 Depth=1
                                        ; =>  This Inner Loop Header: Depth=2
	v_mov_b32_e32 v27, v0
	v_bfe_u32 v0, v27, s3, 8
	v_lshl_add_u32 v0, v0, 3, v15
	v_bfe_u32 v6, v27, s3, 1
	v_mov_b32_e32 v26, v1
	v_lshl_add_u32 v28, v0, 2, 32
	v_lshl_add_u64 v[0:1], v[6:7], 0, -1
	v_cmp_ne_u32_e32 vcc, 0, v6
	v_lshrrev_b32_e32 v2, s3, v27
	s_nop 0
	v_xor_b32_e32 v1, vcc_hi, v1
	v_xor_b32_e32 v0, vcc_lo, v0
	v_and_b32_e32 v3, exec_hi, v1
	v_and_b32_e32 v6, exec_lo, v0
	v_lshlrev_b32_e32 v1, 30, v2
	v_mov_b32_e32 v0, v7
	v_cmp_gt_i64_e32 vcc, 0, v[0:1]
	v_not_b32_e32 v0, v1
	v_ashrrev_i32_e32 v0, 31, v0
	v_xor_b32_e32 v1, vcc_hi, v0
	v_xor_b32_e32 v0, vcc_lo, v0
	v_and_b32_e32 v3, v3, v1
	v_and_b32_e32 v6, v6, v0
	v_lshlrev_b32_e32 v1, 29, v2
	v_mov_b32_e32 v0, v7
	v_cmp_gt_i64_e32 vcc, 0, v[0:1]
	v_not_b32_e32 v0, v1
	v_ashrrev_i32_e32 v0, 31, v0
	v_xor_b32_e32 v1, vcc_hi, v0
	v_xor_b32_e32 v0, vcc_lo, v0
	v_and_b32_e32 v3, v3, v1
	v_and_b32_e32 v6, v6, v0
	;; [unrolled: 9-line block ×7, first 2 shown]
	v_mbcnt_lo_u32_b32 v2, v0, 0
	v_mbcnt_hi_u32_b32 v29, v1, v2
	v_cmp_eq_u32_e32 vcc, 0, v29
	v_cmp_ne_u64_e64 s[38:39], 0, v[0:1]
	s_and_b64 s[44:45], s[38:39], vcc
	ds_write2_b64 v14, v[8:9], v[10:11] offset0:4 offset1:5
	s_waitcnt lgkmcnt(0)
	s_barrier
	s_waitcnt lgkmcnt(0)
	; wave barrier
	s_and_saveexec_b64 s[38:39], s[44:45]
	s_cbranch_execz .LBB43_8
; %bb.7:                                ;   in Loop: Header=BB43_6 Depth=2
	v_bcnt_u32_b32 v0, v0, 0
	v_bcnt_u32_b32 v0, v1, v0
	ds_write_b32 v28, v0
.LBB43_8:                               ;   in Loop: Header=BB43_6 Depth=2
	s_or_b64 exec, exec, s[38:39]
	v_bfe_u32 v0, v26, s3, 8
	v_lshlrev_b32_e32 v0, 3, v0
	v_add_lshl_u32 v0, v0, v15, 2
	v_bfe_u32 v6, v26, s3, 1
	; wave barrier
	v_add_u32_e32 v31, 32, v0
	ds_read_b32 v30, v0 offset:32
	v_lshl_add_u64 v[0:1], v[6:7], 0, -1
	v_cmp_ne_u32_e32 vcc, 0, v6
	v_lshrrev_b32_e32 v2, s3, v26
	s_nop 0
	v_xor_b32_e32 v1, vcc_hi, v1
	v_xor_b32_e32 v0, vcc_lo, v0
	v_and_b32_e32 v3, exec_hi, v1
	v_and_b32_e32 v6, exec_lo, v0
	v_lshlrev_b32_e32 v1, 30, v2
	v_mov_b32_e32 v0, v7
	v_cmp_gt_i64_e32 vcc, 0, v[0:1]
	v_not_b32_e32 v0, v1
	v_ashrrev_i32_e32 v0, 31, v0
	v_xor_b32_e32 v1, vcc_hi, v0
	v_xor_b32_e32 v0, vcc_lo, v0
	v_and_b32_e32 v3, v3, v1
	v_and_b32_e32 v6, v6, v0
	v_lshlrev_b32_e32 v1, 29, v2
	v_mov_b32_e32 v0, v7
	v_cmp_gt_i64_e32 vcc, 0, v[0:1]
	v_not_b32_e32 v0, v1
	v_ashrrev_i32_e32 v0, 31, v0
	v_xor_b32_e32 v1, vcc_hi, v0
	v_xor_b32_e32 v0, vcc_lo, v0
	v_and_b32_e32 v3, v3, v1
	v_and_b32_e32 v6, v6, v0
	;; [unrolled: 9-line block ×7, first 2 shown]
	v_mbcnt_lo_u32_b32 v2, v0, 0
	v_mbcnt_hi_u32_b32 v6, v1, v2
	v_cmp_eq_u32_e32 vcc, 0, v6
	v_cmp_ne_u64_e64 s[38:39], 0, v[0:1]
	s_and_b64 s[44:45], s[38:39], vcc
	; wave barrier
	s_and_saveexec_b64 s[38:39], s[44:45]
	s_cbranch_execz .LBB43_10
; %bb.9:                                ;   in Loop: Header=BB43_6 Depth=2
	v_bcnt_u32_b32 v0, v0, 0
	v_bcnt_u32_b32 v0, v1, v0
	s_waitcnt lgkmcnt(0)
	v_add_u32_e32 v0, v30, v0
	ds_write_b32 v31, v0
.LBB43_10:                              ;   in Loop: Header=BB43_6 Depth=2
	s_or_b64 exec, exec, s[38:39]
	; wave barrier
	s_waitcnt lgkmcnt(0)
	s_barrier
	ds_read2_b64 v[0:3], v14 offset0:4 offset1:5
	s_waitcnt lgkmcnt(0)
	v_add_u32_e32 v32, v1, v0
	v_add3_u32 v3, v32, v2, v3
	s_nop 1
	v_mov_b32_dpp v32, v3 row_shr:1 row_mask:0xf bank_mask:0xf
	v_cndmask_b32_e64 v32, v32, 0, s[4:5]
	v_add_u32_e32 v3, v32, v3
	s_nop 1
	v_mov_b32_dpp v32, v3 row_shr:2 row_mask:0xf bank_mask:0xf
	v_cndmask_b32_e64 v32, 0, v32, s[6:7]
	v_add_u32_e32 v3, v3, v32
	;; [unrolled: 4-line block ×4, first 2 shown]
	s_nop 1
	v_mov_b32_dpp v32, v3 row_bcast:15 row_mask:0xf bank_mask:0xf
	v_cndmask_b32_e64 v32, v32, 0, s[12:13]
	v_add_u32_e32 v3, v3, v32
	s_nop 1
	v_mov_b32_dpp v32, v3 row_bcast:31 row_mask:0xf bank_mask:0xf
	v_cndmask_b32_e64 v32, 0, v32, s[14:15]
	v_add_u32_e32 v3, v3, v32
	s_and_saveexec_b64 s[38:39], s[16:17]
	s_cbranch_execz .LBB43_12
; %bb.11:                               ;   in Loop: Header=BB43_6 Depth=2
	ds_write_b32 v18, v3
.LBB43_12:                              ;   in Loop: Header=BB43_6 Depth=2
	s_or_b64 exec, exec, s[38:39]
	s_waitcnt lgkmcnt(0)
	s_barrier
	s_and_saveexec_b64 s[38:39], s[18:19]
	s_cbranch_execz .LBB43_14
; %bb.13:                               ;   in Loop: Header=BB43_6 Depth=2
	ds_read_b32 v32, v19
	s_waitcnt lgkmcnt(0)
	s_nop 0
	v_mov_b32_dpp v33, v32 row_shr:1 row_mask:0xf bank_mask:0xf
	v_cndmask_b32_e64 v33, v33, 0, s[28:29]
	v_add_u32_e32 v32, v33, v32
	s_nop 1
	v_mov_b32_dpp v33, v32 row_shr:2 row_mask:0xf bank_mask:0xf
	v_cndmask_b32_e64 v33, 0, v33, s[30:31]
	v_add_u32_e32 v32, v32, v33
	;; [unrolled: 4-line block ×3, first 2 shown]
	ds_write_b32 v19, v32
.LBB43_14:                              ;   in Loop: Header=BB43_6 Depth=2
	s_or_b64 exec, exec, s[38:39]
	v_mov_b32_e32 v32, 0
	s_waitcnt lgkmcnt(0)
	s_barrier
	s_and_saveexec_b64 s[38:39], s[20:21]
	s_cbranch_execz .LBB43_16
; %bb.15:                               ;   in Loop: Header=BB43_6 Depth=2
	ds_read_b32 v32, v20
.LBB43_16:                              ;   in Loop: Header=BB43_6 Depth=2
	s_or_b64 exec, exec, s[38:39]
	s_waitcnt lgkmcnt(0)
	v_add_u32_e32 v3, v32, v3
	ds_bpermute_b32 v3, v16, v3
	s_cmp_gt_u32 s3, 23
	s_waitcnt lgkmcnt(0)
	v_cndmask_b32_e64 v3, v3, v32, s[22:23]
	v_cndmask_b32_e64 v32, v3, 0, s[24:25]
	v_add_u32_e32 v33, v32, v0
	v_add_u32_e32 v0, v33, v1
	;; [unrolled: 1-line block ×3, first 2 shown]
	ds_write2_b64 v14, v[32:33], v[0:1] offset0:4 offset1:5
	s_waitcnt lgkmcnt(0)
	s_barrier
	ds_read_b32 v0, v28
	ds_read_b32 v1, v31
	s_waitcnt lgkmcnt(1)
	v_add_u32_e32 v3, v0, v29
	s_waitcnt lgkmcnt(0)
	v_add3_u32 v2, v6, v30, v1
	s_cbranch_scc0 .LBB43_5
; %bb.17:                               ;   in Loop: Header=BB43_2 Depth=1
                                        ; implicit-def: $vgpr1
                                        ; implicit-def: $sgpr3
.LBB43_18:                              ;   in Loop: Header=BB43_2 Depth=1
	v_lshlrev_b32_e32 v0, 2, v3
	s_barrier
	ds_write_b32 v0, v27
	v_lshlrev_b32_e32 v0, 2, v2
	ds_write_b32 v0, v26
	s_waitcnt lgkmcnt(0)
	s_barrier
	ds_read_b64 v[0:1], v22
	s_waitcnt lgkmcnt(0)
	s_barrier
	s_and_saveexec_b64 s[38:39], s[0:1]
	s_cbranch_execz .LBB43_20
; %bb.19:                               ;   in Loop: Header=BB43_2 Depth=1
	ds_write2st64_b32 v19, v25, v25 offset0:16 offset1:24
.LBB43_20:                              ;   in Loop: Header=BB43_2 Depth=1
	s_or_b64 exec, exec, s[38:39]
	v_xor_b32_e32 v2, 0x80000000, v0
	v_xor_b32_e32 v3, 0x80000000, v1
	v_cmp_ne_u32_e32 vcc, v0, v1
	v_lshlrev_b32_e32 v0, 2, v2
	s_waitcnt lgkmcnt(0)
	s_barrier
	ds_write_b32 v19, v3
	s_and_saveexec_b64 s[38:39], vcc
	s_cbranch_execz .LBB43_22
; %bb.21:                               ;   in Loop: Header=BB43_2 Depth=1
	v_lshlrev_b32_e32 v1, 2, v3
	ds_write_b32 v1, v23 offset:4096
	ds_write_b32 v0, v23 offset:6144
.LBB43_22:                              ;   in Loop: Header=BB43_2 Depth=1
	s_or_b64 exec, exec, s[38:39]
	s_waitcnt lgkmcnt(0)
	s_barrier
	s_and_saveexec_b64 s[38:39], s[26:27]
	s_cbranch_execz .LBB43_25
; %bb.23:                               ;   in Loop: Header=BB43_2 Depth=1
	ds_read_b32 v1, v24
	s_waitcnt lgkmcnt(0)
	v_cmp_ne_u32_e32 vcc, v1, v2
	s_and_b64 exec, exec, vcc
	s_cbranch_execz .LBB43_25
; %bb.24:                               ;   in Loop: Header=BB43_2 Depth=1
	ds_write_b32 v0, v5 offset:4096
	ds_read_b32 v1, v24
	s_waitcnt lgkmcnt(0)
	v_lshlrev_b32_e32 v1, 2, v1
	ds_write_b32 v1, v5 offset:6144
.LBB43_25:                              ;   in Loop: Header=BB43_2 Depth=1
	s_or_b64 exec, exec, s[38:39]
	s_waitcnt lgkmcnt(0)
	s_barrier
	s_and_saveexec_b64 s[38:39], s[24:25]
	s_cbranch_execz .LBB43_27
; %bb.26:                               ;   in Loop: Header=BB43_2 Depth=1
	ds_write_b32 v0, v7 offset:4096
.LBB43_27:                              ;   in Loop: Header=BB43_2 Depth=1
	s_or_b64 exec, exec, s[38:39]
	s_waitcnt lgkmcnt(0)
	s_barrier
	s_and_saveexec_b64 s[38:39], s[0:1]
	s_cbranch_execz .LBB43_1
; %bb.28:                               ;   in Loop: Header=BB43_2 Depth=1
	ds_read2st64_b32 v[0:1], v19 offset0:16 offset1:24
	ds_read_b32 v6, v17
	s_waitcnt lgkmcnt(1)
	v_sub_u32_e32 v0, v1, v0
	s_waitcnt lgkmcnt(0)
	v_add_u32_e32 v0, v0, v6
	ds_write_b32 v17, v0
	s_branch .LBB43_1
.LBB43_29:
	s_and_saveexec_b64 s[4:5], s[0:1]
	s_cbranch_execz .LBB43_31
; %bb.30:
	ds_read_b32 v5, v17
	v_mov_b32_e32 v0, s42
	v_mov_b32_e32 v1, s43
	v_lshl_or_b32 v2, s2, 9, v4
	v_mov_b32_e32 v3, 0
	v_lshl_add_u64 v[0:1], v[2:3], 2, v[0:1]
	s_waitcnt lgkmcnt(0)
	global_store_dword v[0:1], v5, off
.LBB43_31:
	s_endpgm
	.section	.rodata,"a",@progbits
	.p2align	6, 0x0
	.amdhsa_kernel _Z6kernelI9histogramILN6hipcub23BlockHistogramAlgorithmE1EEiLj512ELj2ELj512ELj100EEvPKT0_PS4_
		.amdhsa_group_segment_fixed_size 10272
		.amdhsa_private_segment_fixed_size 0
		.amdhsa_kernarg_size 272
		.amdhsa_user_sgpr_count 2
		.amdhsa_user_sgpr_dispatch_ptr 0
		.amdhsa_user_sgpr_queue_ptr 0
		.amdhsa_user_sgpr_kernarg_segment_ptr 1
		.amdhsa_user_sgpr_dispatch_id 0
		.amdhsa_user_sgpr_kernarg_preload_length 0
		.amdhsa_user_sgpr_kernarg_preload_offset 0
		.amdhsa_user_sgpr_private_segment_size 0
		.amdhsa_uses_dynamic_stack 0
		.amdhsa_enable_private_segment 0
		.amdhsa_system_sgpr_workgroup_id_x 1
		.amdhsa_system_sgpr_workgroup_id_y 0
		.amdhsa_system_sgpr_workgroup_id_z 0
		.amdhsa_system_sgpr_workgroup_info 0
		.amdhsa_system_vgpr_workitem_id 2
		.amdhsa_next_free_vgpr 34
		.amdhsa_next_free_sgpr 46
		.amdhsa_accum_offset 36
		.amdhsa_reserve_vcc 1
		.amdhsa_float_round_mode_32 0
		.amdhsa_float_round_mode_16_64 0
		.amdhsa_float_denorm_mode_32 3
		.amdhsa_float_denorm_mode_16_64 3
		.amdhsa_dx10_clamp 1
		.amdhsa_ieee_mode 1
		.amdhsa_fp16_overflow 0
		.amdhsa_tg_split 0
		.amdhsa_exception_fp_ieee_invalid_op 0
		.amdhsa_exception_fp_denorm_src 0
		.amdhsa_exception_fp_ieee_div_zero 0
		.amdhsa_exception_fp_ieee_overflow 0
		.amdhsa_exception_fp_ieee_underflow 0
		.amdhsa_exception_fp_ieee_inexact 0
		.amdhsa_exception_int_div_zero 0
	.end_amdhsa_kernel
	.section	.text._Z6kernelI9histogramILN6hipcub23BlockHistogramAlgorithmE1EEiLj512ELj2ELj512ELj100EEvPKT0_PS4_,"axG",@progbits,_Z6kernelI9histogramILN6hipcub23BlockHistogramAlgorithmE1EEiLj512ELj2ELj512ELj100EEvPKT0_PS4_,comdat
.Lfunc_end43:
	.size	_Z6kernelI9histogramILN6hipcub23BlockHistogramAlgorithmE1EEiLj512ELj2ELj512ELj100EEvPKT0_PS4_, .Lfunc_end43-_Z6kernelI9histogramILN6hipcub23BlockHistogramAlgorithmE1EEiLj512ELj2ELj512ELj100EEvPKT0_PS4_
                                        ; -- End function
	.section	.AMDGPU.csdata,"",@progbits
; Kernel info:
; codeLenInByte = 2252
; NumSgprs: 52
; NumVgprs: 34
; NumAgprs: 0
; TotalNumVgprs: 34
; ScratchSize: 0
; MemoryBound: 0
; FloatMode: 240
; IeeeMode: 1
; LDSByteSize: 10272 bytes/workgroup (compile time only)
; SGPRBlocks: 6
; VGPRBlocks: 4
; NumSGPRsForWavesPerEU: 52
; NumVGPRsForWavesPerEU: 34
; AccumOffset: 36
; Occupancy: 8
; WaveLimiterHint : 0
; COMPUTE_PGM_RSRC2:SCRATCH_EN: 0
; COMPUTE_PGM_RSRC2:USER_SGPR: 2
; COMPUTE_PGM_RSRC2:TRAP_HANDLER: 0
; COMPUTE_PGM_RSRC2:TGID_X_EN: 1
; COMPUTE_PGM_RSRC2:TGID_Y_EN: 0
; COMPUTE_PGM_RSRC2:TGID_Z_EN: 0
; COMPUTE_PGM_RSRC2:TIDIG_COMP_CNT: 2
; COMPUTE_PGM_RSRC3_GFX90A:ACCUM_OFFSET: 8
; COMPUTE_PGM_RSRC3_GFX90A:TG_SPLIT: 0
	.section	.text._Z6kernelI9histogramILN6hipcub23BlockHistogramAlgorithmE1EEiLj512ELj3ELj512ELj100EEvPKT0_PS4_,"axG",@progbits,_Z6kernelI9histogramILN6hipcub23BlockHistogramAlgorithmE1EEiLj512ELj3ELj512ELj100EEvPKT0_PS4_,comdat
	.protected	_Z6kernelI9histogramILN6hipcub23BlockHistogramAlgorithmE1EEiLj512ELj3ELj512ELj100EEvPKT0_PS4_ ; -- Begin function _Z6kernelI9histogramILN6hipcub23BlockHistogramAlgorithmE1EEiLj512ELj3ELj512ELj100EEvPKT0_PS4_
	.globl	_Z6kernelI9histogramILN6hipcub23BlockHistogramAlgorithmE1EEiLj512ELj3ELj512ELj100EEvPKT0_PS4_
	.p2align	8
	.type	_Z6kernelI9histogramILN6hipcub23BlockHistogramAlgorithmE1EEiLj512ELj3ELj512ELj100EEvPKT0_PS4_,@function
_Z6kernelI9histogramILN6hipcub23BlockHistogramAlgorithmE1EEiLj512ELj3ELj512ELj100EEvPKT0_PS4_: ; @_Z6kernelI9histogramILN6hipcub23BlockHistogramAlgorithmE1EEiLj512ELj3ELj512ELj100EEvPKT0_PS4_
; %bb.0:
	s_load_dwordx4 s[36:39], s[0:1], 0x0
	s_load_dword s3, s[0:1], 0x1c
	s_lshl_b32 s0, s2, 9
	v_and_b32_e32 v8, 0x3ff, v0
	v_or_b32_e32 v4, s0, v8
	v_lshl_add_u32 v6, v4, 1, v4
	v_mov_b32_e32 v7, 0
	s_waitcnt lgkmcnt(0)
	v_lshl_add_u64 v[10:11], v[6:7], 2, s[36:37]
	v_add_u32_e32 v2, 1, v6
	v_mov_b32_e32 v3, v7
	v_add_u32_e32 v6, 2, v6
	v_lshl_add_u64 v[12:13], v[2:3], 2, s[36:37]
	v_lshl_add_u64 v[14:15], v[6:7], 2, s[36:37]
	global_load_dword v2, v[10:11], off
	global_load_dword v3, v[12:13], off
	;; [unrolled: 1-line block ×3, first 2 shown]
	v_mbcnt_lo_u32_b32 v1, -1, 0
	v_lshrrev_b32_e32 v10, 6, v8
	v_mbcnt_hi_u32_b32 v9, -1, v1
	v_mul_u32_u24_e32 v1, 0xc0, v10
	v_lshlrev_b32_e32 v5, 2, v1
	v_add_lshl_u32 v12, v9, v1, 2
	s_lshr_b32 s2, s3, 16
	v_bfe_u32 v1, v0, 10, 10
	v_bfe_u32 v0, v0, 20, 10
	s_and_b32 s3, s3, 0xffff
	v_mad_u32_u24 v0, v0, s2, v1
	v_mad_u64_u32 v[0:1], s[2:3], v0, s3, v[8:9]
	v_lshrrev_b32_e32 v14, 6, v0
	v_and_b32_e32 v0, 15, v9
	v_cmp_eq_u32_e64 s[2:3], 0, v0
	v_cmp_lt_u32_e64 s[4:5], 1, v0
	v_cmp_lt_u32_e64 s[6:7], 3, v0
	;; [unrolled: 1-line block ×3, first 2 shown]
	v_and_b32_e32 v0, 16, v9
	v_cmp_eq_u32_e64 s[10:11], 0, v0
	v_or_b32_e32 v0, 63, v8
	v_cmp_eq_u32_e64 s[14:15], v0, v8
	v_add_u32_e32 v0, -1, v9
	v_and_b32_e32 v1, 64, v9
	v_cmp_lt_i32_e32 vcc, v0, v1
	s_mov_b32 s36, 0
	v_lshlrev_b32_e32 v13, 4, v8
	v_cndmask_b32_e32 v0, v0, v9, vcc
	v_lshlrev_b32_e32 v15, 2, v0
	v_and_b32_e32 v0, 7, v9
	s_movk_i32 s0, 0x200
	v_lshlrev_b32_e32 v17, 2, v10
	v_mad_i32_i24 v18, v8, -12, v13
	v_cmp_eq_u32_e64 s[26:27], 0, v0
	v_cmp_lt_u32_e64 s[28:29], 1, v0
	v_cmp_lt_u32_e64 s[30:31], 3, v0
	v_mov_b32_e32 v0, 0x2020
	s_mov_b32 s37, s36
	s_mov_b32 s34, s36
	;; [unrolled: 1-line block ×3, first 2 shown]
	v_cmp_gt_u32_e64 s[0:1], s0, v8
	v_mad_u32_u24 v5, v9, 12, v5
	v_cmp_lt_u32_e64 s[12:13], 31, v9
	v_cmp_gt_u32_e64 s[16:17], 8, v8
	v_cmp_lt_u32_e64 s[18:19], 63, v8
	v_cmp_eq_u32_e64 s[20:21], 0, v9
	v_cmp_eq_u32_e64 s[22:23], 0, v8
	v_cmp_ne_u32_e64 s[24:25], 0, v8
	v_add_u32_e32 v19, -4, v17
	v_mul_u32_u24_e32 v20, 3, v8
	v_lshl_add_u32 v21, v8, 3, v18
	v_mad_u32_u24 v22, v8, 3, 1
	v_mad_u32_u24 v23, v8, 3, 2
	v_lshl_add_u32 v16, v8, 2, v0
	v_add_u32_e32 v24, -4, v18
	v_mov_b64_e32 v[8:9], s[36:37]
	v_mov_b64_e32 v[10:11], s[34:35]
	v_mov_b32_e32 v25, 0x600
	s_branch .LBB44_2
.LBB44_1:                               ;   in Loop: Header=BB44_2 Depth=1
	s_or_b64 exec, exec, s[34:35]
	s_add_i32 s36, s36, 1
	s_cmpk_eq_i32 s36, 0x64
	s_cbranch_scc1 .LBB44_33
.LBB44_2:                               ; =>This Loop Header: Depth=1
                                        ;     Child Loop BB44_6 Depth 2
	s_and_saveexec_b64 s[34:35], s[0:1]
	s_cbranch_execz .LBB44_4
; %bb.3:                                ;   in Loop: Header=BB44_2 Depth=1
	ds_write_b32 v16, v7
.LBB44_4:                               ;   in Loop: Header=BB44_2 Depth=1
	s_or_b64 exec, exec, s[34:35]
	s_waitcnt vmcnt(0)
	v_xor_b32_e32 v0, 0x80000000, v6
	v_xor_b32_e32 v1, 0x80000000, v3
	;; [unrolled: 1-line block ×3, first 2 shown]
	s_waitcnt lgkmcnt(0)
	s_barrier
	ds_write2_b32 v5, v2, v1 offset1:1
	ds_write_b32 v5, v0 offset:8
	; wave barrier
	ds_read2st64_b32 v[0:1], v12 offset1:1
	ds_read_b32 v6, v12 offset:512
	s_mov_b32 s33, 0
	s_waitcnt lgkmcnt(0)
	s_barrier
	s_waitcnt lgkmcnt(0)
	; wave barrier
	s_barrier
	s_branch .LBB44_6
.LBB44_5:                               ;   in Loop: Header=BB44_6 Depth=2
	v_lshlrev_b32_e32 v0, 2, v29
	s_barrier
	ds_write_b32 v0, v28
	v_lshlrev_b32_e32 v0, 2, v3
	ds_write_b32 v0, v27
	v_lshlrev_b32_e32 v0, 2, v2
	ds_write_b32 v0, v26
	s_waitcnt lgkmcnt(0)
	s_barrier
	ds_read2st64_b32 v[0:1], v12 offset1:1
	ds_read_b32 v6, v12 offset:512
	s_add_i32 s33, s33, 8
	s_waitcnt lgkmcnt(0)
	s_barrier
	s_cbranch_execz .LBB44_20
.LBB44_6:                               ;   Parent Loop BB44_2 Depth=1
                                        ; =>  This Inner Loop Header: Depth=2
	v_mov_b32_e32 v28, v0
	v_bfe_u32 v0, v28, s33, 8
	v_mov_b32_e32 v26, v6
	v_lshl_add_u32 v0, v0, 3, v14
	v_bfe_u32 v6, v28, s33, 1
	v_mov_b32_e32 v27, v1
	v_lshl_add_u32 v29, v0, 2, 32
	v_lshl_add_u64 v[0:1], v[6:7], 0, -1
	v_cmp_ne_u32_e32 vcc, 0, v6
	v_lshrrev_b32_e32 v2, s33, v28
	s_nop 0
	v_xor_b32_e32 v1, vcc_hi, v1
	v_xor_b32_e32 v0, vcc_lo, v0
	v_and_b32_e32 v3, exec_hi, v1
	v_and_b32_e32 v6, exec_lo, v0
	v_lshlrev_b32_e32 v1, 30, v2
	v_mov_b32_e32 v0, v7
	v_cmp_gt_i64_e32 vcc, 0, v[0:1]
	v_not_b32_e32 v0, v1
	v_ashrrev_i32_e32 v0, 31, v0
	v_xor_b32_e32 v1, vcc_hi, v0
	v_xor_b32_e32 v0, vcc_lo, v0
	v_and_b32_e32 v3, v3, v1
	v_and_b32_e32 v6, v6, v0
	v_lshlrev_b32_e32 v1, 29, v2
	v_mov_b32_e32 v0, v7
	v_cmp_gt_i64_e32 vcc, 0, v[0:1]
	v_not_b32_e32 v0, v1
	v_ashrrev_i32_e32 v0, 31, v0
	v_xor_b32_e32 v1, vcc_hi, v0
	v_xor_b32_e32 v0, vcc_lo, v0
	v_and_b32_e32 v3, v3, v1
	v_and_b32_e32 v6, v6, v0
	;; [unrolled: 9-line block ×7, first 2 shown]
	v_mbcnt_lo_u32_b32 v2, v0, 0
	v_mbcnt_hi_u32_b32 v30, v1, v2
	v_cmp_eq_u32_e32 vcc, 0, v30
	v_cmp_ne_u64_e64 s[34:35], 0, v[0:1]
	s_and_b64 s[40:41], s[34:35], vcc
	ds_write2_b64 v13, v[8:9], v[10:11] offset0:4 offset1:5
	s_waitcnt lgkmcnt(0)
	s_barrier
	s_waitcnt lgkmcnt(0)
	; wave barrier
	s_and_saveexec_b64 s[34:35], s[40:41]
	s_cbranch_execz .LBB44_8
; %bb.7:                                ;   in Loop: Header=BB44_6 Depth=2
	v_bcnt_u32_b32 v0, v0, 0
	v_bcnt_u32_b32 v0, v1, v0
	ds_write_b32 v29, v0
.LBB44_8:                               ;   in Loop: Header=BB44_6 Depth=2
	s_or_b64 exec, exec, s[34:35]
	v_bfe_u32 v0, v27, s33, 8
	v_lshlrev_b32_e32 v0, 3, v0
	v_add_lshl_u32 v0, v0, v14, 2
	v_bfe_u32 v6, v27, s33, 1
	; wave barrier
	v_add_u32_e32 v32, 32, v0
	ds_read_b32 v31, v0 offset:32
	v_lshl_add_u64 v[0:1], v[6:7], 0, -1
	v_cmp_ne_u32_e32 vcc, 0, v6
	v_lshrrev_b32_e32 v2, s33, v27
	s_nop 0
	v_xor_b32_e32 v1, vcc_hi, v1
	v_xor_b32_e32 v0, vcc_lo, v0
	v_and_b32_e32 v3, exec_hi, v1
	v_and_b32_e32 v6, exec_lo, v0
	v_lshlrev_b32_e32 v1, 30, v2
	v_mov_b32_e32 v0, v7
	v_cmp_gt_i64_e32 vcc, 0, v[0:1]
	v_not_b32_e32 v0, v1
	v_ashrrev_i32_e32 v0, 31, v0
	v_xor_b32_e32 v1, vcc_hi, v0
	v_xor_b32_e32 v0, vcc_lo, v0
	v_and_b32_e32 v3, v3, v1
	v_and_b32_e32 v6, v6, v0
	v_lshlrev_b32_e32 v1, 29, v2
	v_mov_b32_e32 v0, v7
	v_cmp_gt_i64_e32 vcc, 0, v[0:1]
	v_not_b32_e32 v0, v1
	v_ashrrev_i32_e32 v0, 31, v0
	v_xor_b32_e32 v1, vcc_hi, v0
	v_xor_b32_e32 v0, vcc_lo, v0
	v_and_b32_e32 v3, v3, v1
	v_and_b32_e32 v6, v6, v0
	v_lshlrev_b32_e32 v1, 28, v2
	v_mov_b32_e32 v0, v7
	v_cmp_gt_i64_e32 vcc, 0, v[0:1]
	v_not_b32_e32 v0, v1
	v_ashrrev_i32_e32 v0, 31, v0
	v_xor_b32_e32 v1, vcc_hi, v0
	v_xor_b32_e32 v0, vcc_lo, v0
	v_and_b32_e32 v3, v3, v1
	v_and_b32_e32 v6, v6, v0
	v_lshlrev_b32_e32 v1, 27, v2
	v_mov_b32_e32 v0, v7
	v_cmp_gt_i64_e32 vcc, 0, v[0:1]
	v_not_b32_e32 v0, v1
	v_ashrrev_i32_e32 v0, 31, v0
	v_xor_b32_e32 v1, vcc_hi, v0
	v_xor_b32_e32 v0, vcc_lo, v0
	v_and_b32_e32 v3, v3, v1
	v_and_b32_e32 v6, v6, v0
	v_lshlrev_b32_e32 v1, 26, v2
	v_mov_b32_e32 v0, v7
	v_cmp_gt_i64_e32 vcc, 0, v[0:1]
	v_not_b32_e32 v0, v1
	v_ashrrev_i32_e32 v0, 31, v0
	v_xor_b32_e32 v1, vcc_hi, v0
	v_xor_b32_e32 v0, vcc_lo, v0
	v_and_b32_e32 v3, v3, v1
	v_and_b32_e32 v6, v6, v0
	v_lshlrev_b32_e32 v1, 25, v2
	v_mov_b32_e32 v0, v7
	v_cmp_gt_i64_e32 vcc, 0, v[0:1]
	v_not_b32_e32 v0, v1
	v_ashrrev_i32_e32 v0, 31, v0
	v_xor_b32_e32 v1, vcc_hi, v0
	v_xor_b32_e32 v0, vcc_lo, v0
	v_and_b32_e32 v3, v3, v1
	v_and_b32_e32 v6, v6, v0
	v_lshlrev_b32_e32 v1, 24, v2
	v_mov_b32_e32 v0, v7
	v_cmp_gt_i64_e32 vcc, 0, v[0:1]
	v_not_b32_e32 v0, v1
	v_ashrrev_i32_e32 v0, 31, v0
	v_xor_b32_e32 v1, vcc_hi, v0
	v_xor_b32_e32 v0, vcc_lo, v0
	v_and_b32_e32 v0, v6, v0
	v_and_b32_e32 v1, v3, v1
	v_mbcnt_lo_u32_b32 v2, v0, 0
	v_mbcnt_hi_u32_b32 v33, v1, v2
	v_cmp_eq_u32_e32 vcc, 0, v33
	v_cmp_ne_u64_e64 s[34:35], 0, v[0:1]
	s_and_b64 s[40:41], s[34:35], vcc
	; wave barrier
	s_and_saveexec_b64 s[34:35], s[40:41]
	s_cbranch_execz .LBB44_10
; %bb.9:                                ;   in Loop: Header=BB44_6 Depth=2
	v_bcnt_u32_b32 v0, v0, 0
	v_bcnt_u32_b32 v0, v1, v0
	s_waitcnt lgkmcnt(0)
	v_add_u32_e32 v0, v31, v0
	ds_write_b32 v32, v0
.LBB44_10:                              ;   in Loop: Header=BB44_6 Depth=2
	s_or_b64 exec, exec, s[34:35]
	v_bfe_u32 v0, v26, s33, 8
	v_lshlrev_b32_e32 v0, 3, v0
	v_add_lshl_u32 v0, v0, v14, 2
	v_bfe_u32 v6, v26, s33, 1
	; wave barrier
	v_add_u32_e32 v35, 32, v0
	ds_read_b32 v34, v0 offset:32
	v_lshl_add_u64 v[0:1], v[6:7], 0, -1
	v_cmp_ne_u32_e32 vcc, 0, v6
	v_lshrrev_b32_e32 v2, s33, v26
	s_nop 0
	v_xor_b32_e32 v1, vcc_hi, v1
	v_xor_b32_e32 v0, vcc_lo, v0
	v_and_b32_e32 v3, exec_hi, v1
	v_and_b32_e32 v6, exec_lo, v0
	v_lshlrev_b32_e32 v1, 30, v2
	v_mov_b32_e32 v0, v7
	v_cmp_gt_i64_e32 vcc, 0, v[0:1]
	v_not_b32_e32 v0, v1
	v_ashrrev_i32_e32 v0, 31, v0
	v_xor_b32_e32 v1, vcc_hi, v0
	v_xor_b32_e32 v0, vcc_lo, v0
	v_and_b32_e32 v3, v3, v1
	v_and_b32_e32 v6, v6, v0
	v_lshlrev_b32_e32 v1, 29, v2
	v_mov_b32_e32 v0, v7
	v_cmp_gt_i64_e32 vcc, 0, v[0:1]
	v_not_b32_e32 v0, v1
	v_ashrrev_i32_e32 v0, 31, v0
	v_xor_b32_e32 v1, vcc_hi, v0
	v_xor_b32_e32 v0, vcc_lo, v0
	v_and_b32_e32 v3, v3, v1
	v_and_b32_e32 v6, v6, v0
	;; [unrolled: 9-line block ×7, first 2 shown]
	v_mbcnt_lo_u32_b32 v2, v0, 0
	v_mbcnt_hi_u32_b32 v6, v1, v2
	v_cmp_eq_u32_e32 vcc, 0, v6
	v_cmp_ne_u64_e64 s[34:35], 0, v[0:1]
	s_and_b64 s[40:41], s[34:35], vcc
	; wave barrier
	s_and_saveexec_b64 s[34:35], s[40:41]
	s_cbranch_execz .LBB44_12
; %bb.11:                               ;   in Loop: Header=BB44_6 Depth=2
	v_bcnt_u32_b32 v0, v0, 0
	v_bcnt_u32_b32 v0, v1, v0
	s_waitcnt lgkmcnt(0)
	v_add_u32_e32 v0, v34, v0
	ds_write_b32 v35, v0
.LBB44_12:                              ;   in Loop: Header=BB44_6 Depth=2
	s_or_b64 exec, exec, s[34:35]
	; wave barrier
	s_waitcnt lgkmcnt(0)
	s_barrier
	ds_read2_b64 v[0:3], v13 offset0:4 offset1:5
	s_waitcnt lgkmcnt(0)
	v_add_u32_e32 v36, v1, v0
	v_add3_u32 v3, v36, v2, v3
	s_nop 1
	v_mov_b32_dpp v36, v3 row_shr:1 row_mask:0xf bank_mask:0xf
	v_cndmask_b32_e64 v36, v36, 0, s[2:3]
	v_add_u32_e32 v3, v36, v3
	s_nop 1
	v_mov_b32_dpp v36, v3 row_shr:2 row_mask:0xf bank_mask:0xf
	v_cndmask_b32_e64 v36, 0, v36, s[4:5]
	v_add_u32_e32 v3, v3, v36
	;; [unrolled: 4-line block ×4, first 2 shown]
	s_nop 1
	v_mov_b32_dpp v36, v3 row_bcast:15 row_mask:0xf bank_mask:0xf
	v_cndmask_b32_e64 v36, v36, 0, s[10:11]
	v_add_u32_e32 v3, v3, v36
	s_nop 1
	v_mov_b32_dpp v36, v3 row_bcast:31 row_mask:0xf bank_mask:0xf
	v_cndmask_b32_e64 v36, 0, v36, s[12:13]
	v_add_u32_e32 v3, v3, v36
	s_and_saveexec_b64 s[34:35], s[14:15]
	s_cbranch_execz .LBB44_14
; %bb.13:                               ;   in Loop: Header=BB44_6 Depth=2
	ds_write_b32 v17, v3
.LBB44_14:                              ;   in Loop: Header=BB44_6 Depth=2
	s_or_b64 exec, exec, s[34:35]
	s_waitcnt lgkmcnt(0)
	s_barrier
	s_and_saveexec_b64 s[34:35], s[16:17]
	s_cbranch_execz .LBB44_16
; %bb.15:                               ;   in Loop: Header=BB44_6 Depth=2
	ds_read_b32 v36, v18
	s_waitcnt lgkmcnt(0)
	s_nop 0
	v_mov_b32_dpp v37, v36 row_shr:1 row_mask:0xf bank_mask:0xf
	v_cndmask_b32_e64 v37, v37, 0, s[26:27]
	v_add_u32_e32 v36, v37, v36
	s_nop 1
	v_mov_b32_dpp v37, v36 row_shr:2 row_mask:0xf bank_mask:0xf
	v_cndmask_b32_e64 v37, 0, v37, s[28:29]
	v_add_u32_e32 v36, v36, v37
	;; [unrolled: 4-line block ×3, first 2 shown]
	ds_write_b32 v18, v36
.LBB44_16:                              ;   in Loop: Header=BB44_6 Depth=2
	s_or_b64 exec, exec, s[34:35]
	v_mov_b32_e32 v36, 0
	s_waitcnt lgkmcnt(0)
	s_barrier
	s_and_saveexec_b64 s[34:35], s[18:19]
	s_cbranch_execz .LBB44_18
; %bb.17:                               ;   in Loop: Header=BB44_6 Depth=2
	ds_read_b32 v36, v19
.LBB44_18:                              ;   in Loop: Header=BB44_6 Depth=2
	s_or_b64 exec, exec, s[34:35]
	s_waitcnt lgkmcnt(0)
	v_add_u32_e32 v3, v36, v3
	ds_bpermute_b32 v3, v15, v3
	s_cmp_gt_u32 s33, 23
	s_waitcnt lgkmcnt(0)
	v_cndmask_b32_e64 v3, v3, v36, s[20:21]
	v_cndmask_b32_e64 v36, v3, 0, s[22:23]
	v_add_u32_e32 v37, v36, v0
	v_add_u32_e32 v0, v37, v1
	;; [unrolled: 1-line block ×3, first 2 shown]
	ds_write2_b64 v13, v[36:37], v[0:1] offset0:4 offset1:5
	s_waitcnt lgkmcnt(0)
	s_barrier
	ds_read_b32 v0, v29
	ds_read_b32 v1, v32
	;; [unrolled: 1-line block ×3, first 2 shown]
	s_waitcnt lgkmcnt(2)
	v_add_u32_e32 v29, v0, v30
	s_waitcnt lgkmcnt(1)
	v_add3_u32 v3, v33, v31, v1
	s_waitcnt lgkmcnt(0)
	v_add3_u32 v2, v6, v34, v2
	s_cbranch_scc0 .LBB44_5
; %bb.19:                               ;   in Loop: Header=BB44_2 Depth=1
                                        ; implicit-def: $vgpr6
                                        ; implicit-def: $vgpr1
                                        ; implicit-def: $sgpr33
.LBB44_20:                              ;   in Loop: Header=BB44_2 Depth=1
	v_lshlrev_b32_e32 v0, 2, v29
	s_barrier
	ds_write_b32 v0, v28
	v_lshlrev_b32_e32 v0, 2, v3
	ds_write_b32 v0, v27
	v_lshlrev_b32_e32 v0, 2, v2
	ds_write_b32 v0, v26
	s_waitcnt lgkmcnt(0)
	s_barrier
	ds_read_b32 v26, v21 offset:8
	ds_read2_b32 v[0:1], v21 offset1:1
	s_waitcnt lgkmcnt(0)
	s_barrier
	s_and_saveexec_b64 s[34:35], s[0:1]
	s_cbranch_execz .LBB44_22
; %bb.21:                               ;   in Loop: Header=BB44_2 Depth=1
	ds_write2st64_b32 v18, v25, v25 offset0:16 offset1:24
.LBB44_22:                              ;   in Loop: Header=BB44_2 Depth=1
	s_or_b64 exec, exec, s[34:35]
	v_xor_b32_e32 v6, 0x80000000, v26
	v_xor_b32_e32 v3, 0x80000000, v1
	;; [unrolled: 1-line block ×3, first 2 shown]
	v_cmp_ne_u32_e32 vcc, v1, v26
	v_mov_b32_e32 v1, v6
	s_waitcnt lgkmcnt(0)
	s_barrier
	ds_write_b32 v18, v6
	s_and_saveexec_b64 s[34:35], vcc
	s_cbranch_execz .LBB44_24
; %bb.23:                               ;   in Loop: Header=BB44_2 Depth=1
	v_lshlrev_b32_e32 v0, 2, v6
	v_lshlrev_b32_e32 v1, 2, v3
	ds_write_b32 v0, v23 offset:4096
	ds_write_b32 v1, v23 offset:6144
	v_mov_b32_e32 v1, v3
.LBB44_24:                              ;   in Loop: Header=BB44_2 Depth=1
	s_or_b64 exec, exec, s[34:35]
	v_cmp_ne_u32_e32 vcc, v2, v1
	v_lshlrev_b32_e32 v0, 2, v2
	s_and_saveexec_b64 s[34:35], vcc
	s_cbranch_execz .LBB44_26
; %bb.25:                               ;   in Loop: Header=BB44_2 Depth=1
	v_lshlrev_b32_e32 v1, 2, v1
	ds_write_b32 v1, v22 offset:4096
	ds_write_b32 v0, v22 offset:6144
.LBB44_26:                              ;   in Loop: Header=BB44_2 Depth=1
	s_or_b64 exec, exec, s[34:35]
	s_waitcnt lgkmcnt(0)
	s_barrier
	s_and_saveexec_b64 s[34:35], s[24:25]
	s_cbranch_execz .LBB44_29
; %bb.27:                               ;   in Loop: Header=BB44_2 Depth=1
	ds_read_b32 v1, v24
	s_waitcnt lgkmcnt(0)
	v_cmp_ne_u32_e32 vcc, v1, v2
	s_and_b64 exec, exec, vcc
	s_cbranch_execz .LBB44_29
; %bb.28:                               ;   in Loop: Header=BB44_2 Depth=1
	ds_write_b32 v0, v20 offset:4096
	ds_read_b32 v1, v24
	s_waitcnt lgkmcnt(0)
	v_lshlrev_b32_e32 v1, 2, v1
	ds_write_b32 v1, v20 offset:6144
.LBB44_29:                              ;   in Loop: Header=BB44_2 Depth=1
	s_or_b64 exec, exec, s[34:35]
	s_waitcnt lgkmcnt(0)
	s_barrier
	s_and_saveexec_b64 s[34:35], s[22:23]
	s_cbranch_execz .LBB44_31
; %bb.30:                               ;   in Loop: Header=BB44_2 Depth=1
	ds_write_b32 v0, v7 offset:4096
.LBB44_31:                              ;   in Loop: Header=BB44_2 Depth=1
	s_or_b64 exec, exec, s[34:35]
	s_waitcnt lgkmcnt(0)
	s_barrier
	s_and_saveexec_b64 s[34:35], s[0:1]
	s_cbranch_execz .LBB44_1
; %bb.32:                               ;   in Loop: Header=BB44_2 Depth=1
	ds_read2st64_b32 v[0:1], v18 offset0:16 offset1:24
	ds_read_b32 v26, v16
	s_waitcnt lgkmcnt(1)
	v_sub_u32_e32 v0, v1, v0
	s_waitcnt lgkmcnt(0)
	v_add_u32_e32 v0, v0, v26
	ds_write_b32 v16, v0
	s_branch .LBB44_1
.LBB44_33:
	s_and_saveexec_b64 s[2:3], s[0:1]
	s_cbranch_execz .LBB44_35
; %bb.34:
	ds_read_b32 v2, v16
	v_mov_b32_e32 v0, s38
	v_mov_b32_e32 v1, s39
	;; [unrolled: 1-line block ×3, first 2 shown]
	v_lshl_add_u64 v[0:1], v[4:5], 2, v[0:1]
	s_waitcnt lgkmcnt(0)
	global_store_dword v[0:1], v2, off
.LBB44_35:
	s_endpgm
	.section	.rodata,"a",@progbits
	.p2align	6, 0x0
	.amdhsa_kernel _Z6kernelI9histogramILN6hipcub23BlockHistogramAlgorithmE1EEiLj512ELj3ELj512ELj100EEvPKT0_PS4_
		.amdhsa_group_segment_fixed_size 10272
		.amdhsa_private_segment_fixed_size 0
		.amdhsa_kernarg_size 272
		.amdhsa_user_sgpr_count 2
		.amdhsa_user_sgpr_dispatch_ptr 0
		.amdhsa_user_sgpr_queue_ptr 0
		.amdhsa_user_sgpr_kernarg_segment_ptr 1
		.amdhsa_user_sgpr_dispatch_id 0
		.amdhsa_user_sgpr_kernarg_preload_length 0
		.amdhsa_user_sgpr_kernarg_preload_offset 0
		.amdhsa_user_sgpr_private_segment_size 0
		.amdhsa_uses_dynamic_stack 0
		.amdhsa_enable_private_segment 0
		.amdhsa_system_sgpr_workgroup_id_x 1
		.amdhsa_system_sgpr_workgroup_id_y 0
		.amdhsa_system_sgpr_workgroup_id_z 0
		.amdhsa_system_sgpr_workgroup_info 0
		.amdhsa_system_vgpr_workitem_id 2
		.amdhsa_next_free_vgpr 38
		.amdhsa_next_free_sgpr 42
		.amdhsa_accum_offset 40
		.amdhsa_reserve_vcc 1
		.amdhsa_float_round_mode_32 0
		.amdhsa_float_round_mode_16_64 0
		.amdhsa_float_denorm_mode_32 3
		.amdhsa_float_denorm_mode_16_64 3
		.amdhsa_dx10_clamp 1
		.amdhsa_ieee_mode 1
		.amdhsa_fp16_overflow 0
		.amdhsa_tg_split 0
		.amdhsa_exception_fp_ieee_invalid_op 0
		.amdhsa_exception_fp_denorm_src 0
		.amdhsa_exception_fp_ieee_div_zero 0
		.amdhsa_exception_fp_ieee_overflow 0
		.amdhsa_exception_fp_ieee_underflow 0
		.amdhsa_exception_fp_ieee_inexact 0
		.amdhsa_exception_int_div_zero 0
	.end_amdhsa_kernel
	.section	.text._Z6kernelI9histogramILN6hipcub23BlockHistogramAlgorithmE1EEiLj512ELj3ELj512ELj100EEvPKT0_PS4_,"axG",@progbits,_Z6kernelI9histogramILN6hipcub23BlockHistogramAlgorithmE1EEiLj512ELj3ELj512ELj100EEvPKT0_PS4_,comdat
.Lfunc_end44:
	.size	_Z6kernelI9histogramILN6hipcub23BlockHistogramAlgorithmE1EEiLj512ELj3ELj512ELj100EEvPKT0_PS4_, .Lfunc_end44-_Z6kernelI9histogramILN6hipcub23BlockHistogramAlgorithmE1EEiLj512ELj3ELj512ELj100EEvPKT0_PS4_
                                        ; -- End function
	.section	.AMDGPU.csdata,"",@progbits
; Kernel info:
; codeLenInByte = 2816
; NumSgprs: 48
; NumVgprs: 38
; NumAgprs: 0
; TotalNumVgprs: 38
; ScratchSize: 0
; MemoryBound: 0
; FloatMode: 240
; IeeeMode: 1
; LDSByteSize: 10272 bytes/workgroup (compile time only)
; SGPRBlocks: 5
; VGPRBlocks: 4
; NumSGPRsForWavesPerEU: 48
; NumVGPRsForWavesPerEU: 38
; AccumOffset: 40
; Occupancy: 8
; WaveLimiterHint : 0
; COMPUTE_PGM_RSRC2:SCRATCH_EN: 0
; COMPUTE_PGM_RSRC2:USER_SGPR: 2
; COMPUTE_PGM_RSRC2:TRAP_HANDLER: 0
; COMPUTE_PGM_RSRC2:TGID_X_EN: 1
; COMPUTE_PGM_RSRC2:TGID_Y_EN: 0
; COMPUTE_PGM_RSRC2:TGID_Z_EN: 0
; COMPUTE_PGM_RSRC2:TIDIG_COMP_CNT: 2
; COMPUTE_PGM_RSRC3_GFX90A:ACCUM_OFFSET: 9
; COMPUTE_PGM_RSRC3_GFX90A:TG_SPLIT: 0
	.section	.text._Z6kernelI9histogramILN6hipcub23BlockHistogramAlgorithmE1EEiLj512ELj4ELj512ELj100EEvPKT0_PS4_,"axG",@progbits,_Z6kernelI9histogramILN6hipcub23BlockHistogramAlgorithmE1EEiLj512ELj4ELj512ELj100EEvPKT0_PS4_,comdat
	.protected	_Z6kernelI9histogramILN6hipcub23BlockHistogramAlgorithmE1EEiLj512ELj4ELj512ELj100EEvPKT0_PS4_ ; -- Begin function _Z6kernelI9histogramILN6hipcub23BlockHistogramAlgorithmE1EEiLj512ELj4ELj512ELj100EEvPKT0_PS4_
	.globl	_Z6kernelI9histogramILN6hipcub23BlockHistogramAlgorithmE1EEiLj512ELj4ELj512ELj100EEvPKT0_PS4_
	.p2align	8
	.type	_Z6kernelI9histogramILN6hipcub23BlockHistogramAlgorithmE1EEiLj512ELj4ELj512ELj100EEvPKT0_PS4_,@function
_Z6kernelI9histogramILN6hipcub23BlockHistogramAlgorithmE1EEiLj512ELj4ELj512ELj100EEvPKT0_PS4_: ; @_Z6kernelI9histogramILN6hipcub23BlockHistogramAlgorithmE1EEiLj512ELj4ELj512ELj100EEvPKT0_PS4_
; %bb.0:
	s_load_dwordx4 s[44:47], s[0:1], 0x0
	s_load_dword s3, s[0:1], 0x1c
	v_and_b32_e32 v6, 0x3ff, v0
	v_lshlrev_b32_e32 v7, 2, v6
	v_lshl_or_b32 v8, s2, 11, v7
	s_waitcnt lgkmcnt(0)
	v_mov_b32_e32 v2, s44
	v_mov_b32_e32 v3, s45
	;; [unrolled: 1-line block ×3, first 2 shown]
	v_lshl_add_u64 v[2:3], v[8:9], 2, v[2:3]
	global_load_dwordx4 v[2:5], v[2:3], off
	v_mbcnt_lo_u32_b32 v1, -1, 0
	v_mbcnt_hi_u32_b32 v8, -1, v1
	v_and_b32_e32 v10, 3, v8
	v_lshrrev_b32_e32 v1, 2, v8
	v_cmp_eq_u32_e64 s[40:41], 3, v10
	v_cmp_eq_u32_e64 s[4:5], 2, v10
	;; [unrolled: 1-line block ×3, first 2 shown]
	v_and_b32_e32 v10, 64, v8
	v_or_b32_e32 v11, v1, v10
	v_add_u32_e32 v1, 48, v1
	v_and_or_b32 v1, v1, 63, v10
	v_lshlrev_b32_e32 v17, 2, v1
	s_lshr_b32 s8, s3, 16
	v_bfe_u32 v1, v0, 10, 10
	v_bfe_u32 v0, v0, 20, 10
	s_and_b32 s3, s3, 0xffff
	v_mad_u32_u24 v0, v0, s8, v1
	v_mad_u64_u32 v[0:1], s[8:9], v0, s3, v[6:7]
	v_lshrrev_b32_e32 v22, 6, v0
	v_and_b32_e32 v0, 15, v8
	v_cmp_eq_u32_e64 s[8:9], 0, v0
	v_cmp_lt_u32_e64 s[10:11], 1, v0
	v_cmp_lt_u32_e64 s[12:13], 3, v0
	;; [unrolled: 1-line block ×3, first 2 shown]
	v_and_b32_e32 v0, 16, v8
	v_cmp_eq_u32_e64 s[16:17], 0, v0
	v_or_b32_e32 v0, 63, v6
	v_cmp_eq_u32_e64 s[20:21], v0, v6
	v_add_u32_e32 v0, -1, v8
	v_cmp_lt_i32_e32 vcc, v0, v10
	v_lshlrev_b32_e32 v18, 4, v6
	v_mad_i32_i24 v26, v6, -12, v18
	v_cndmask_b32_e32 v0, v0, v8, vcc
	v_lshlrev_b32_e32 v24, 2, v0
	v_lshrrev_b32_e32 v0, 4, v6
	s_mov_b32 s44, 0
	v_and_b32_e32 v25, 28, v0
	v_and_b32_e32 v0, 7, v8
	s_movk_i32 s3, 0x700
	v_mad_u32_u24 v29, v6, 12, v26
	s_movk_i32 s0, 0x200
	v_lshlrev_b32_e32 v14, 2, v11
	v_cmp_eq_u32_e64 s[34:35], 0, v0
	v_cmp_lt_u32_e64 s[36:37], 1, v0
	v_cmp_lt_u32_e64 s[38:39], 3, v0
	v_and_or_b32 v0, v7, s3, v8
	v_mad_i32_i24 v30, v6, -12, v29
	s_mov_b32 s45, s44
	s_mov_b32 s42, s44
	;; [unrolled: 1-line block ×3, first 2 shown]
	v_cmp_gt_u32_e64 s[0:1], s0, v6
	v_add_u32_e32 v15, 64, v14
	v_or_b32_e32 v16, 0x80, v14
	v_or_b32_e32 v19, 1, v7
	;; [unrolled: 1-line block ×4, first 2 shown]
	v_cmp_lt_u32_e64 s[18:19], 31, v8
	v_cmp_gt_u32_e64 s[22:23], 8, v6
	v_cmp_lt_u32_e64 s[24:25], 63, v6
	v_cmp_eq_u32_e64 s[26:27], 0, v8
	v_cmp_eq_u32_e64 s[28:29], 0, v6
	v_cmp_ne_u32_e64 s[30:31], 0, v6
	v_add_u32_e32 v27, -4, v25
	v_lshlrev_b32_e32 v28, 2, v0
	v_add_u32_e32 v23, 0x2020, v7
	v_add_u32_e32 v31, -4, v30
	v_mov_b64_e32 v[10:11], s[44:45]
	v_mov_b64_e32 v[12:13], s[42:43]
	v_mov_b32_e32 v32, 0x800
	s_branch .LBB45_2
.LBB45_1:                               ;   in Loop: Header=BB45_2 Depth=1
	s_or_b64 exec, exec, s[42:43]
	s_add_i32 s44, s44, 1
	s_cmpk_eq_i32 s44, 0x64
	s_cbranch_scc1 .LBB45_37
.LBB45_2:                               ; =>This Loop Header: Depth=1
                                        ;     Child Loop BB45_6 Depth 2
	s_and_saveexec_b64 s[42:43], s[0:1]
	s_cbranch_execz .LBB45_4
; %bb.3:                                ;   in Loop: Header=BB45_2 Depth=1
	ds_write_b32 v23, v9
.LBB45_4:                               ;   in Loop: Header=BB45_2 Depth=1
	s_or_b64 exec, exec, s[42:43]
	s_waitcnt vmcnt(0)
	v_xor_b32_e32 v2, 0x80000000, v2
	v_xor_b32_e32 v3, 0x80000000, v3
	;; [unrolled: 1-line block ×3, first 2 shown]
	ds_bpermute_b32 v0, v14, v2
	ds_bpermute_b32 v1, v14, v3
	;; [unrolled: 1-line block ×3, first 2 shown]
	v_xor_b32_e32 v5, 0x80000000, v5
	ds_bpermute_b32 v33, v15, v3
	ds_bpermute_b32 v34, v15, v4
	s_waitcnt lgkmcnt(3)
	v_cndmask_b32_e64 v0, v0, v1, s[6:7]
	s_waitcnt lgkmcnt(2)
	v_cndmask_b32_e64 v0, v0, v8, s[4:5]
	ds_bpermute_b32 v1, v14, v5
	ds_bpermute_b32 v8, v15, v2
	;; [unrolled: 1-line block ×5, first 2 shown]
	s_waitcnt lgkmcnt(4)
	v_cndmask_b32_e64 v0, v0, v1, s[40:41]
	s_waitcnt lgkmcnt(3)
	v_cndmask_b32_e64 v1, v8, v33, s[6:7]
	v_cndmask_b32_e64 v1, v1, v34, s[4:5]
	s_waitcnt lgkmcnt(2)
	v_cndmask_b32_e64 v1, v1, v35, s[40:41]
	ds_bpermute_b32 v35, v17, v2
	ds_bpermute_b32 v3, v17, v3
	;; [unrolled: 1-line block ×6, first 2 shown]
	s_waitcnt lgkmcnt(6)
	v_cndmask_b32_e64 v8, v36, v37, s[6:7]
	s_waitcnt lgkmcnt(4)
	v_cndmask_b32_e64 v3, v35, v3, s[6:7]
	;; [unrolled: 2-line block ×6, first 2 shown]
	s_mov_b32 s3, 0
	s_barrier
	s_barrier
	s_branch .LBB45_6
.LBB45_5:                               ;   in Loop: Header=BB45_6 Depth=2
	v_lshlrev_b32_e32 v0, 2, v38
	s_barrier
	ds_write_b32 v0, v34
	v_lshlrev_b32_e32 v0, 2, v36
	ds_write_b32 v0, v33
	v_lshlrev_b32_e32 v0, 2, v35
	;; [unrolled: 2-line block ×3, first 2 shown]
	ds_write_b32 v0, v4
	s_waitcnt lgkmcnt(0)
	s_barrier
	ds_read2st64_b32 v[0:1], v28 offset1:1
	ds_read2st64_b32 v[2:3], v28 offset0:2 offset1:3
	s_add_i32 s3, s3, 8
	s_waitcnt lgkmcnt(0)
	s_barrier
	s_cbranch_execz .LBB45_22
.LBB45_6:                               ;   Parent Loop BB45_2 Depth=1
                                        ; =>  This Inner Loop Header: Depth=2
	v_mov_b32_e32 v34, v0
	v_bfe_u32 v0, v34, s3, 8
	v_lshl_add_u32 v0, v0, 3, v22
	v_bfe_u32 v8, v34, s3, 1
	v_mov_b32_e32 v33, v1
	v_lshl_add_u32 v35, v0, 2, 32
	v_lshl_add_u64 v[0:1], v[8:9], 0, -1
	v_cmp_ne_u32_e32 vcc, 0, v8
	v_mov_b32_e32 v5, v2
	v_lshrrev_b32_e32 v2, s3, v34
	v_xor_b32_e32 v1, vcc_hi, v1
	v_xor_b32_e32 v0, vcc_lo, v0
	v_mov_b32_e32 v4, v3
	v_and_b32_e32 v3, exec_hi, v1
	v_and_b32_e32 v8, exec_lo, v0
	v_lshlrev_b32_e32 v1, 30, v2
	v_mov_b32_e32 v0, v9
	v_cmp_gt_i64_e32 vcc, 0, v[0:1]
	v_not_b32_e32 v0, v1
	v_ashrrev_i32_e32 v0, 31, v0
	v_xor_b32_e32 v1, vcc_hi, v0
	v_xor_b32_e32 v0, vcc_lo, v0
	v_and_b32_e32 v3, v3, v1
	v_and_b32_e32 v8, v8, v0
	v_lshlrev_b32_e32 v1, 29, v2
	v_mov_b32_e32 v0, v9
	v_cmp_gt_i64_e32 vcc, 0, v[0:1]
	v_not_b32_e32 v0, v1
	v_ashrrev_i32_e32 v0, 31, v0
	v_xor_b32_e32 v1, vcc_hi, v0
	v_xor_b32_e32 v0, vcc_lo, v0
	v_and_b32_e32 v3, v3, v1
	v_and_b32_e32 v8, v8, v0
	;; [unrolled: 9-line block ×7, first 2 shown]
	v_mbcnt_lo_u32_b32 v2, v0, 0
	v_mbcnt_hi_u32_b32 v36, v1, v2
	v_cmp_eq_u32_e32 vcc, 0, v36
	v_cmp_ne_u64_e64 s[42:43], 0, v[0:1]
	s_and_b64 s[48:49], s[42:43], vcc
	ds_write2_b64 v18, v[10:11], v[12:13] offset0:4 offset1:5
	s_waitcnt lgkmcnt(0)
	s_barrier
	s_waitcnt lgkmcnt(0)
	; wave barrier
	s_and_saveexec_b64 s[42:43], s[48:49]
	s_cbranch_execz .LBB45_8
; %bb.7:                                ;   in Loop: Header=BB45_6 Depth=2
	v_bcnt_u32_b32 v0, v0, 0
	v_bcnt_u32_b32 v0, v1, v0
	ds_write_b32 v35, v0
.LBB45_8:                               ;   in Loop: Header=BB45_6 Depth=2
	s_or_b64 exec, exec, s[42:43]
	v_bfe_u32 v0, v33, s3, 8
	v_lshlrev_b32_e32 v0, 3, v0
	v_add_lshl_u32 v0, v0, v22, 2
	v_bfe_u32 v8, v33, s3, 1
	; wave barrier
	v_add_u32_e32 v38, 32, v0
	ds_read_b32 v37, v0 offset:32
	v_lshl_add_u64 v[0:1], v[8:9], 0, -1
	v_cmp_ne_u32_e32 vcc, 0, v8
	v_lshrrev_b32_e32 v2, s3, v33
	s_nop 0
	v_xor_b32_e32 v1, vcc_hi, v1
	v_xor_b32_e32 v0, vcc_lo, v0
	v_and_b32_e32 v3, exec_hi, v1
	v_and_b32_e32 v8, exec_lo, v0
	v_lshlrev_b32_e32 v1, 30, v2
	v_mov_b32_e32 v0, v9
	v_cmp_gt_i64_e32 vcc, 0, v[0:1]
	v_not_b32_e32 v0, v1
	v_ashrrev_i32_e32 v0, 31, v0
	v_xor_b32_e32 v1, vcc_hi, v0
	v_xor_b32_e32 v0, vcc_lo, v0
	v_and_b32_e32 v3, v3, v1
	v_and_b32_e32 v8, v8, v0
	v_lshlrev_b32_e32 v1, 29, v2
	v_mov_b32_e32 v0, v9
	v_cmp_gt_i64_e32 vcc, 0, v[0:1]
	v_not_b32_e32 v0, v1
	v_ashrrev_i32_e32 v0, 31, v0
	v_xor_b32_e32 v1, vcc_hi, v0
	v_xor_b32_e32 v0, vcc_lo, v0
	v_and_b32_e32 v3, v3, v1
	v_and_b32_e32 v8, v8, v0
	v_lshlrev_b32_e32 v1, 28, v2
	v_mov_b32_e32 v0, v9
	v_cmp_gt_i64_e32 vcc, 0, v[0:1]
	v_not_b32_e32 v0, v1
	v_ashrrev_i32_e32 v0, 31, v0
	v_xor_b32_e32 v1, vcc_hi, v0
	v_xor_b32_e32 v0, vcc_lo, v0
	v_and_b32_e32 v3, v3, v1
	v_and_b32_e32 v8, v8, v0
	v_lshlrev_b32_e32 v1, 27, v2
	v_mov_b32_e32 v0, v9
	v_cmp_gt_i64_e32 vcc, 0, v[0:1]
	v_not_b32_e32 v0, v1
	v_ashrrev_i32_e32 v0, 31, v0
	v_xor_b32_e32 v1, vcc_hi, v0
	v_xor_b32_e32 v0, vcc_lo, v0
	v_and_b32_e32 v3, v3, v1
	v_and_b32_e32 v8, v8, v0
	v_lshlrev_b32_e32 v1, 26, v2
	v_mov_b32_e32 v0, v9
	v_cmp_gt_i64_e32 vcc, 0, v[0:1]
	v_not_b32_e32 v0, v1
	v_ashrrev_i32_e32 v0, 31, v0
	v_xor_b32_e32 v1, vcc_hi, v0
	v_xor_b32_e32 v0, vcc_lo, v0
	v_and_b32_e32 v3, v3, v1
	v_and_b32_e32 v8, v8, v0
	v_lshlrev_b32_e32 v1, 25, v2
	v_mov_b32_e32 v0, v9
	v_cmp_gt_i64_e32 vcc, 0, v[0:1]
	v_not_b32_e32 v0, v1
	v_ashrrev_i32_e32 v0, 31, v0
	v_xor_b32_e32 v1, vcc_hi, v0
	v_xor_b32_e32 v0, vcc_lo, v0
	v_and_b32_e32 v3, v3, v1
	v_and_b32_e32 v8, v8, v0
	v_lshlrev_b32_e32 v1, 24, v2
	v_mov_b32_e32 v0, v9
	v_cmp_gt_i64_e32 vcc, 0, v[0:1]
	v_not_b32_e32 v0, v1
	v_ashrrev_i32_e32 v0, 31, v0
	v_xor_b32_e32 v1, vcc_hi, v0
	v_xor_b32_e32 v0, vcc_lo, v0
	v_and_b32_e32 v0, v8, v0
	v_and_b32_e32 v1, v3, v1
	v_mbcnt_lo_u32_b32 v2, v0, 0
	v_mbcnt_hi_u32_b32 v39, v1, v2
	v_cmp_eq_u32_e32 vcc, 0, v39
	v_cmp_ne_u64_e64 s[42:43], 0, v[0:1]
	s_and_b64 s[48:49], s[42:43], vcc
	; wave barrier
	s_and_saveexec_b64 s[42:43], s[48:49]
	s_cbranch_execz .LBB45_10
; %bb.9:                                ;   in Loop: Header=BB45_6 Depth=2
	v_bcnt_u32_b32 v0, v0, 0
	v_bcnt_u32_b32 v0, v1, v0
	s_waitcnt lgkmcnt(0)
	v_add_u32_e32 v0, v37, v0
	ds_write_b32 v38, v0
.LBB45_10:                              ;   in Loop: Header=BB45_6 Depth=2
	s_or_b64 exec, exec, s[42:43]
	v_bfe_u32 v0, v5, s3, 8
	v_lshlrev_b32_e32 v0, 3, v0
	v_add_lshl_u32 v0, v0, v22, 2
	v_bfe_u32 v8, v5, s3, 1
	; wave barrier
	v_add_u32_e32 v41, 32, v0
	ds_read_b32 v40, v0 offset:32
	v_lshl_add_u64 v[0:1], v[8:9], 0, -1
	v_cmp_ne_u32_e32 vcc, 0, v8
	v_lshrrev_b32_e32 v2, s3, v5
	s_nop 0
	v_xor_b32_e32 v1, vcc_hi, v1
	v_xor_b32_e32 v0, vcc_lo, v0
	v_and_b32_e32 v3, exec_hi, v1
	v_and_b32_e32 v8, exec_lo, v0
	v_lshlrev_b32_e32 v1, 30, v2
	v_mov_b32_e32 v0, v9
	v_cmp_gt_i64_e32 vcc, 0, v[0:1]
	v_not_b32_e32 v0, v1
	v_ashrrev_i32_e32 v0, 31, v0
	v_xor_b32_e32 v1, vcc_hi, v0
	v_xor_b32_e32 v0, vcc_lo, v0
	v_and_b32_e32 v3, v3, v1
	v_and_b32_e32 v8, v8, v0
	v_lshlrev_b32_e32 v1, 29, v2
	v_mov_b32_e32 v0, v9
	v_cmp_gt_i64_e32 vcc, 0, v[0:1]
	v_not_b32_e32 v0, v1
	v_ashrrev_i32_e32 v0, 31, v0
	v_xor_b32_e32 v1, vcc_hi, v0
	v_xor_b32_e32 v0, vcc_lo, v0
	v_and_b32_e32 v3, v3, v1
	v_and_b32_e32 v8, v8, v0
	;; [unrolled: 9-line block ×7, first 2 shown]
	v_mbcnt_lo_u32_b32 v2, v0, 0
	v_mbcnt_hi_u32_b32 v42, v1, v2
	v_cmp_eq_u32_e32 vcc, 0, v42
	v_cmp_ne_u64_e64 s[42:43], 0, v[0:1]
	s_and_b64 s[48:49], s[42:43], vcc
	; wave barrier
	s_and_saveexec_b64 s[42:43], s[48:49]
	s_cbranch_execz .LBB45_12
; %bb.11:                               ;   in Loop: Header=BB45_6 Depth=2
	v_bcnt_u32_b32 v0, v0, 0
	v_bcnt_u32_b32 v0, v1, v0
	s_waitcnt lgkmcnt(0)
	v_add_u32_e32 v0, v40, v0
	ds_write_b32 v41, v0
.LBB45_12:                              ;   in Loop: Header=BB45_6 Depth=2
	s_or_b64 exec, exec, s[42:43]
	v_bfe_u32 v0, v4, s3, 8
	v_lshlrev_b32_e32 v0, 3, v0
	v_add_lshl_u32 v0, v0, v22, 2
	v_bfe_u32 v8, v4, s3, 1
	; wave barrier
	v_add_u32_e32 v44, 32, v0
	ds_read_b32 v43, v0 offset:32
	v_lshl_add_u64 v[0:1], v[8:9], 0, -1
	v_cmp_ne_u32_e32 vcc, 0, v8
	v_lshrrev_b32_e32 v2, s3, v4
	s_nop 0
	v_xor_b32_e32 v1, vcc_hi, v1
	v_xor_b32_e32 v0, vcc_lo, v0
	v_and_b32_e32 v3, exec_hi, v1
	v_and_b32_e32 v8, exec_lo, v0
	v_lshlrev_b32_e32 v1, 30, v2
	v_mov_b32_e32 v0, v9
	v_cmp_gt_i64_e32 vcc, 0, v[0:1]
	v_not_b32_e32 v0, v1
	v_ashrrev_i32_e32 v0, 31, v0
	v_xor_b32_e32 v1, vcc_hi, v0
	v_xor_b32_e32 v0, vcc_lo, v0
	v_and_b32_e32 v3, v3, v1
	v_and_b32_e32 v8, v8, v0
	v_lshlrev_b32_e32 v1, 29, v2
	v_mov_b32_e32 v0, v9
	v_cmp_gt_i64_e32 vcc, 0, v[0:1]
	v_not_b32_e32 v0, v1
	v_ashrrev_i32_e32 v0, 31, v0
	v_xor_b32_e32 v1, vcc_hi, v0
	v_xor_b32_e32 v0, vcc_lo, v0
	v_and_b32_e32 v3, v3, v1
	v_and_b32_e32 v8, v8, v0
	;; [unrolled: 9-line block ×7, first 2 shown]
	v_mbcnt_lo_u32_b32 v2, v0, 0
	v_mbcnt_hi_u32_b32 v8, v1, v2
	v_cmp_eq_u32_e32 vcc, 0, v8
	v_cmp_ne_u64_e64 s[42:43], 0, v[0:1]
	s_and_b64 s[48:49], s[42:43], vcc
	; wave barrier
	s_and_saveexec_b64 s[42:43], s[48:49]
	s_cbranch_execz .LBB45_14
; %bb.13:                               ;   in Loop: Header=BB45_6 Depth=2
	v_bcnt_u32_b32 v0, v0, 0
	v_bcnt_u32_b32 v0, v1, v0
	s_waitcnt lgkmcnt(0)
	v_add_u32_e32 v0, v43, v0
	ds_write_b32 v44, v0
.LBB45_14:                              ;   in Loop: Header=BB45_6 Depth=2
	s_or_b64 exec, exec, s[42:43]
	; wave barrier
	s_waitcnt lgkmcnt(0)
	s_barrier
	ds_read2_b64 v[0:3], v18 offset0:4 offset1:5
	s_waitcnt lgkmcnt(0)
	v_add_u32_e32 v45, v1, v0
	v_add3_u32 v3, v45, v2, v3
	s_nop 1
	v_mov_b32_dpp v45, v3 row_shr:1 row_mask:0xf bank_mask:0xf
	v_cndmask_b32_e64 v45, v45, 0, s[8:9]
	v_add_u32_e32 v3, v45, v3
	s_nop 1
	v_mov_b32_dpp v45, v3 row_shr:2 row_mask:0xf bank_mask:0xf
	v_cndmask_b32_e64 v45, 0, v45, s[10:11]
	v_add_u32_e32 v3, v3, v45
	s_nop 1
	v_mov_b32_dpp v45, v3 row_shr:4 row_mask:0xf bank_mask:0xf
	v_cndmask_b32_e64 v45, 0, v45, s[12:13]
	v_add_u32_e32 v3, v3, v45
	s_nop 1
	v_mov_b32_dpp v45, v3 row_shr:8 row_mask:0xf bank_mask:0xf
	v_cndmask_b32_e64 v45, 0, v45, s[14:15]
	v_add_u32_e32 v3, v3, v45
	s_nop 1
	v_mov_b32_dpp v45, v3 row_bcast:15 row_mask:0xf bank_mask:0xf
	v_cndmask_b32_e64 v45, v45, 0, s[16:17]
	v_add_u32_e32 v3, v3, v45
	s_nop 1
	v_mov_b32_dpp v45, v3 row_bcast:31 row_mask:0xf bank_mask:0xf
	v_cndmask_b32_e64 v45, 0, v45, s[18:19]
	v_add_u32_e32 v3, v3, v45
	s_and_saveexec_b64 s[42:43], s[20:21]
	s_cbranch_execz .LBB45_16
; %bb.15:                               ;   in Loop: Header=BB45_6 Depth=2
	ds_write_b32 v25, v3
.LBB45_16:                              ;   in Loop: Header=BB45_6 Depth=2
	s_or_b64 exec, exec, s[42:43]
	s_waitcnt lgkmcnt(0)
	s_barrier
	s_and_saveexec_b64 s[42:43], s[22:23]
	s_cbranch_execz .LBB45_18
; %bb.17:                               ;   in Loop: Header=BB45_6 Depth=2
	ds_read_b32 v45, v26
	s_waitcnt lgkmcnt(0)
	s_nop 0
	v_mov_b32_dpp v46, v45 row_shr:1 row_mask:0xf bank_mask:0xf
	v_cndmask_b32_e64 v46, v46, 0, s[34:35]
	v_add_u32_e32 v45, v46, v45
	s_nop 1
	v_mov_b32_dpp v46, v45 row_shr:2 row_mask:0xf bank_mask:0xf
	v_cndmask_b32_e64 v46, 0, v46, s[36:37]
	v_add_u32_e32 v45, v45, v46
	;; [unrolled: 4-line block ×3, first 2 shown]
	ds_write_b32 v26, v45
.LBB45_18:                              ;   in Loop: Header=BB45_6 Depth=2
	s_or_b64 exec, exec, s[42:43]
	v_mov_b32_e32 v45, 0
	s_waitcnt lgkmcnt(0)
	s_barrier
	s_and_saveexec_b64 s[42:43], s[24:25]
	s_cbranch_execz .LBB45_20
; %bb.19:                               ;   in Loop: Header=BB45_6 Depth=2
	ds_read_b32 v45, v27
.LBB45_20:                              ;   in Loop: Header=BB45_6 Depth=2
	s_or_b64 exec, exec, s[42:43]
	s_waitcnt lgkmcnt(0)
	v_add_u32_e32 v3, v45, v3
	ds_bpermute_b32 v3, v24, v3
	s_cmp_gt_u32 s3, 23
	s_waitcnt lgkmcnt(0)
	v_cndmask_b32_e64 v3, v3, v45, s[26:27]
	v_cndmask_b32_e64 v46, v3, 0, s[28:29]
	v_add_u32_e32 v47, v46, v0
	v_add_u32_e32 v0, v47, v1
	;; [unrolled: 1-line block ×3, first 2 shown]
	ds_write2_b64 v18, v[46:47], v[0:1] offset0:4 offset1:5
	s_waitcnt lgkmcnt(0)
	s_barrier
	ds_read_b32 v0, v35
	ds_read_b32 v1, v38
	;; [unrolled: 1-line block ×4, first 2 shown]
	s_waitcnt lgkmcnt(3)
	v_add_u32_e32 v38, v0, v36
	s_waitcnt lgkmcnt(2)
	v_add3_u32 v36, v39, v37, v1
	s_waitcnt lgkmcnt(1)
	v_add3_u32 v35, v42, v40, v2
	;; [unrolled: 2-line block ×3, first 2 shown]
	s_cbranch_scc0 .LBB45_5
; %bb.21:                               ;   in Loop: Header=BB45_2 Depth=1
                                        ; implicit-def: $vgpr3
                                        ; implicit-def: $vgpr1
                                        ; implicit-def: $sgpr3
.LBB45_22:                              ;   in Loop: Header=BB45_2 Depth=1
	v_lshlrev_b32_e32 v0, 2, v38
	s_barrier
	ds_write_b32 v0, v34
	v_lshlrev_b32_e32 v0, 2, v36
	ds_write_b32 v0, v33
	v_lshlrev_b32_e32 v0, 2, v35
	;; [unrolled: 2-line block ×3, first 2 shown]
	ds_write_b32 v0, v4
	s_waitcnt lgkmcnt(0)
	s_barrier
	ds_read2_b64 v[0:3], v29 offset1:1
	s_waitcnt lgkmcnt(0)
	s_barrier
	s_and_saveexec_b64 s[42:43], s[0:1]
	s_cbranch_execz .LBB45_24
; %bb.23:                               ;   in Loop: Header=BB45_2 Depth=1
	ds_write2st64_b32 v30, v32, v32 offset0:16 offset1:24
.LBB45_24:                              ;   in Loop: Header=BB45_2 Depth=1
	s_or_b64 exec, exec, s[42:43]
	v_xor_b32_e32 v5, 0x80000000, v3
	v_xor_b32_e32 v4, 0x80000000, v2
	v_cmp_ne_u32_e32 vcc, v2, v3
	v_mov_b32_e32 v2, v5
	s_waitcnt lgkmcnt(0)
	s_barrier
	ds_write_b32 v26, v5
	s_and_saveexec_b64 s[42:43], vcc
	s_cbranch_execz .LBB45_26
; %bb.25:                               ;   in Loop: Header=BB45_2 Depth=1
	v_lshlrev_b32_e32 v2, 2, v5
	v_lshlrev_b32_e32 v3, 2, v4
	ds_write_b32 v2, v21 offset:4096
	ds_write_b32 v3, v21 offset:6144
	v_mov_b32_e32 v2, v4
.LBB45_26:                              ;   in Loop: Header=BB45_2 Depth=1
	s_or_b64 exec, exec, s[42:43]
	v_xor_b32_e32 v3, 0x80000000, v1
	v_cmp_ne_u32_e32 vcc, v3, v2
	v_lshlrev_b32_e32 v8, 2, v3
	s_and_saveexec_b64 s[42:43], vcc
	s_cbranch_execz .LBB45_28
; %bb.27:                               ;   in Loop: Header=BB45_2 Depth=1
	v_lshlrev_b32_e32 v2, 2, v2
	ds_write_b32 v2, v20 offset:4096
	ds_write_b32 v8, v20 offset:6144
.LBB45_28:                              ;   in Loop: Header=BB45_2 Depth=1
	s_or_b64 exec, exec, s[42:43]
	v_xor_b32_e32 v2, 0x80000000, v0
	v_cmp_ne_u32_e32 vcc, v0, v1
	v_lshlrev_b32_e32 v0, 2, v2
	s_and_saveexec_b64 s[42:43], vcc
	s_cbranch_execz .LBB45_30
; %bb.29:                               ;   in Loop: Header=BB45_2 Depth=1
	ds_write_b32 v8, v19 offset:4096
	ds_write_b32 v0, v19 offset:6144
.LBB45_30:                              ;   in Loop: Header=BB45_2 Depth=1
	s_or_b64 exec, exec, s[42:43]
	s_waitcnt lgkmcnt(0)
	s_barrier
	s_and_saveexec_b64 s[42:43], s[30:31]
	s_cbranch_execz .LBB45_33
; %bb.31:                               ;   in Loop: Header=BB45_2 Depth=1
	ds_read_b32 v1, v31
	s_waitcnt lgkmcnt(0)
	v_cmp_ne_u32_e32 vcc, v1, v2
	s_and_b64 exec, exec, vcc
	s_cbranch_execz .LBB45_33
; %bb.32:                               ;   in Loop: Header=BB45_2 Depth=1
	ds_write_b32 v0, v7 offset:4096
	ds_read_b32 v1, v31
	s_waitcnt lgkmcnt(0)
	v_lshlrev_b32_e32 v1, 2, v1
	ds_write_b32 v1, v7 offset:6144
.LBB45_33:                              ;   in Loop: Header=BB45_2 Depth=1
	s_or_b64 exec, exec, s[42:43]
	s_waitcnt lgkmcnt(0)
	s_barrier
	s_and_saveexec_b64 s[42:43], s[28:29]
	s_cbranch_execz .LBB45_35
; %bb.34:                               ;   in Loop: Header=BB45_2 Depth=1
	ds_write_b32 v0, v9 offset:4096
.LBB45_35:                              ;   in Loop: Header=BB45_2 Depth=1
	s_or_b64 exec, exec, s[42:43]
	s_waitcnt lgkmcnt(0)
	s_barrier
	s_and_saveexec_b64 s[42:43], s[0:1]
	s_cbranch_execz .LBB45_1
; %bb.36:                               ;   in Loop: Header=BB45_2 Depth=1
	ds_read2st64_b32 v[0:1], v30 offset0:16 offset1:24
	ds_read_b32 v8, v23
	s_waitcnt lgkmcnt(1)
	v_sub_u32_e32 v0, v1, v0
	s_waitcnt lgkmcnt(0)
	v_add_u32_e32 v0, v0, v8
	ds_write_b32 v23, v0
	s_branch .LBB45_1
.LBB45_37:
	s_and_saveexec_b64 s[4:5], s[0:1]
	s_cbranch_execz .LBB45_39
; %bb.38:
	ds_read_b32 v4, v23
	v_mov_b32_e32 v0, s46
	v_mov_b32_e32 v1, s47
	v_lshl_or_b32 v2, s2, 9, v6
	v_mov_b32_e32 v3, 0
	v_lshl_add_u64 v[0:1], v[2:3], 2, v[0:1]
	s_waitcnt lgkmcnt(0)
	global_store_dword v[0:1], v4, off
.LBB45_39:
	s_endpgm
	.section	.rodata,"a",@progbits
	.p2align	6, 0x0
	.amdhsa_kernel _Z6kernelI9histogramILN6hipcub23BlockHistogramAlgorithmE1EEiLj512ELj4ELj512ELj100EEvPKT0_PS4_
		.amdhsa_group_segment_fixed_size 10272
		.amdhsa_private_segment_fixed_size 0
		.amdhsa_kernarg_size 272
		.amdhsa_user_sgpr_count 2
		.amdhsa_user_sgpr_dispatch_ptr 0
		.amdhsa_user_sgpr_queue_ptr 0
		.amdhsa_user_sgpr_kernarg_segment_ptr 1
		.amdhsa_user_sgpr_dispatch_id 0
		.amdhsa_user_sgpr_kernarg_preload_length 0
		.amdhsa_user_sgpr_kernarg_preload_offset 0
		.amdhsa_user_sgpr_private_segment_size 0
		.amdhsa_uses_dynamic_stack 0
		.amdhsa_enable_private_segment 0
		.amdhsa_system_sgpr_workgroup_id_x 1
		.amdhsa_system_sgpr_workgroup_id_y 0
		.amdhsa_system_sgpr_workgroup_id_z 0
		.amdhsa_system_sgpr_workgroup_info 0
		.amdhsa_system_vgpr_workitem_id 2
		.amdhsa_next_free_vgpr 48
		.amdhsa_next_free_sgpr 50
		.amdhsa_accum_offset 48
		.amdhsa_reserve_vcc 1
		.amdhsa_float_round_mode_32 0
		.amdhsa_float_round_mode_16_64 0
		.amdhsa_float_denorm_mode_32 3
		.amdhsa_float_denorm_mode_16_64 3
		.amdhsa_dx10_clamp 1
		.amdhsa_ieee_mode 1
		.amdhsa_fp16_overflow 0
		.amdhsa_tg_split 0
		.amdhsa_exception_fp_ieee_invalid_op 0
		.amdhsa_exception_fp_denorm_src 0
		.amdhsa_exception_fp_ieee_div_zero 0
		.amdhsa_exception_fp_ieee_overflow 0
		.amdhsa_exception_fp_ieee_underflow 0
		.amdhsa_exception_fp_ieee_inexact 0
		.amdhsa_exception_int_div_zero 0
	.end_amdhsa_kernel
	.section	.text._Z6kernelI9histogramILN6hipcub23BlockHistogramAlgorithmE1EEiLj512ELj4ELj512ELj100EEvPKT0_PS4_,"axG",@progbits,_Z6kernelI9histogramILN6hipcub23BlockHistogramAlgorithmE1EEiLj512ELj4ELj512ELj100EEvPKT0_PS4_,comdat
.Lfunc_end45:
	.size	_Z6kernelI9histogramILN6hipcub23BlockHistogramAlgorithmE1EEiLj512ELj4ELj512ELj100EEvPKT0_PS4_, .Lfunc_end45-_Z6kernelI9histogramILN6hipcub23BlockHistogramAlgorithmE1EEiLj512ELj4ELj512ELj100EEvPKT0_PS4_
                                        ; -- End function
	.section	.AMDGPU.csdata,"",@progbits
; Kernel info:
; codeLenInByte = 3544
; NumSgprs: 56
; NumVgprs: 48
; NumAgprs: 0
; TotalNumVgprs: 48
; ScratchSize: 0
; MemoryBound: 0
; FloatMode: 240
; IeeeMode: 1
; LDSByteSize: 10272 bytes/workgroup (compile time only)
; SGPRBlocks: 6
; VGPRBlocks: 5
; NumSGPRsForWavesPerEU: 56
; NumVGPRsForWavesPerEU: 48
; AccumOffset: 48
; Occupancy: 8
; WaveLimiterHint : 0
; COMPUTE_PGM_RSRC2:SCRATCH_EN: 0
; COMPUTE_PGM_RSRC2:USER_SGPR: 2
; COMPUTE_PGM_RSRC2:TRAP_HANDLER: 0
; COMPUTE_PGM_RSRC2:TGID_X_EN: 1
; COMPUTE_PGM_RSRC2:TGID_Y_EN: 0
; COMPUTE_PGM_RSRC2:TGID_Z_EN: 0
; COMPUTE_PGM_RSRC2:TIDIG_COMP_CNT: 2
; COMPUTE_PGM_RSRC3_GFX90A:ACCUM_OFFSET: 11
; COMPUTE_PGM_RSRC3_GFX90A:TG_SPLIT: 0
	.section	.text._Z6kernelI9histogramILN6hipcub23BlockHistogramAlgorithmE1EEiLj512ELj8ELj512ELj100EEvPKT0_PS4_,"axG",@progbits,_Z6kernelI9histogramILN6hipcub23BlockHistogramAlgorithmE1EEiLj512ELj8ELj512ELj100EEvPKT0_PS4_,comdat
	.protected	_Z6kernelI9histogramILN6hipcub23BlockHistogramAlgorithmE1EEiLj512ELj8ELj512ELj100EEvPKT0_PS4_ ; -- Begin function _Z6kernelI9histogramILN6hipcub23BlockHistogramAlgorithmE1EEiLj512ELj8ELj512ELj100EEvPKT0_PS4_
	.globl	_Z6kernelI9histogramILN6hipcub23BlockHistogramAlgorithmE1EEiLj512ELj8ELj512ELj100EEvPKT0_PS4_
	.p2align	8
	.type	_Z6kernelI9histogramILN6hipcub23BlockHistogramAlgorithmE1EEiLj512ELj8ELj512ELj100EEvPKT0_PS4_,@function
_Z6kernelI9histogramILN6hipcub23BlockHistogramAlgorithmE1EEiLj512ELj8ELj512ELj100EEvPKT0_PS4_: ; @_Z6kernelI9histogramILN6hipcub23BlockHistogramAlgorithmE1EEiLj512ELj8ELj512ELj100EEvPKT0_PS4_
; %bb.0:
	s_load_dwordx4 s[36:39], s[0:1], 0x0
	s_load_dword s3, s[0:1], 0x1c
	v_and_b32_e32 v14, 0x3ff, v0
	v_lshlrev_b32_e32 v15, 3, v14
	v_lshl_or_b32 v16, s2, 12, v15
	s_waitcnt lgkmcnt(0)
	v_mov_b32_e32 v2, s36
	v_mov_b32_e32 v3, s37
	v_mov_b32_e32 v17, 0
	v_lshl_add_u64 v[10:11], v[16:17], 2, v[2:3]
	global_load_dwordx4 v[6:9], v[10:11], off
	global_load_dwordx4 v[2:5], v[10:11], off offset:16
	v_mbcnt_lo_u32_b32 v1, -1, 0
	v_mbcnt_hi_u32_b32 v10, -1, v1
	s_movk_i32 s4, 0xe00
	v_and_or_b32 v1, v15, s4, v10
	v_lshlrev_b32_e32 v23, 2, v1
	s_lshr_b32 s4, s3, 16
	v_bfe_u32 v1, v0, 10, 10
	v_bfe_u32 v0, v0, 20, 10
	s_and_b32 s3, s3, 0xffff
	v_mad_u32_u24 v0, v0, s4, v1
	v_mad_u64_u32 v[0:1], s[4:5], v0, s3, v[14:15]
	v_lshrrev_b32_e32 v25, 6, v0
	v_and_b32_e32 v0, 15, v10
	v_and_b32_e32 v11, 0x1c0, v14
	v_cmp_eq_u32_e64 s[34:35], 0, v0
	v_cmp_lt_u32_e64 s[4:5], 1, v0
	v_cmp_lt_u32_e64 s[6:7], 3, v0
	;; [unrolled: 1-line block ×3, first 2 shown]
	v_and_b32_e32 v0, 16, v10
	v_cmp_eq_u32_e64 s[10:11], 0, v0
	v_or_b32_e32 v0, 63, v11
	v_cmp_eq_u32_e64 s[14:15], v0, v14
	v_add_u32_e32 v0, -1, v10
	v_and_b32_e32 v1, 64, v10
	v_cmp_lt_i32_e32 vcc, v0, v1
	v_lshlrev_b32_e32 v24, 4, v14
	v_mad_i32_i24 v29, v14, -12, v24
	v_cndmask_b32_e32 v0, v0, v10, vcc
	v_lshlrev_b32_e32 v26, 2, v0
	v_lshrrev_b32_e32 v0, 4, v14
	s_mov_b32 s40, 0
	v_and_b32_e32 v28, 28, v0
	v_and_b32_e32 v0, 7, v10
	v_mad_u32_u24 v31, v14, 28, v29
	s_movk_i32 s3, 0xffe4
	s_movk_i32 s0, 0x200
	v_cmp_eq_u32_e64 s[26:27], 0, v0
	v_cmp_lt_u32_e64 s[28:29], 1, v0
	v_cmp_lt_u32_e64 s[30:31], 3, v0
	v_mov_b32_e32 v0, 0x4000
	v_mad_i32_i24 v39, v14, s3, v31
	s_mov_b32 s41, s40
	s_mov_b32 s36, s40
	;; [unrolled: 1-line block ×3, first 2 shown]
	v_cmp_gt_u32_e64 s[0:1], s0, v14
	v_add_lshl_u32 v22, v10, v11, 5
	v_cmp_lt_u32_e64 s[12:13], 31, v10
	v_cmp_gt_u32_e64 s[16:17], 8, v14
	v_cmp_lt_u32_e64 s[18:19], 63, v14
	v_cmp_eq_u32_e64 s[20:21], 0, v10
	v_cmp_eq_u32_e64 s[22:23], 0, v14
	v_cmp_ne_u32_e64 s[24:25], 0, v14
	v_add_u32_e32 v30, -4, v28
	v_or_b32_e32 v32, 1, v15
	v_or_b32_e32 v33, 2, v15
	;; [unrolled: 1-line block ×7, first 2 shown]
	v_lshl_or_b32 v27, v14, 2, v0
	v_add_u32_e32 v40, -4, v39
	v_mov_b64_e32 v[18:19], s[40:41]
	v_mov_b64_e32 v[20:21], s[36:37]
	v_mov_b32_e32 v41, 0x1000
	s_branch .LBB46_2
.LBB46_1:                               ;   in Loop: Header=BB46_2 Depth=1
	s_or_b64 exec, exec, s[36:37]
	s_add_i32 s40, s40, 1
	s_cmpk_eq_i32 s40, 0x64
	s_cbranch_scc1 .LBB46_53
.LBB46_2:                               ; =>This Loop Header: Depth=1
                                        ;     Child Loop BB46_6 Depth 2
	s_and_saveexec_b64 s[36:37], s[0:1]
	s_cbranch_execz .LBB46_4
; %bb.3:                                ;   in Loop: Header=BB46_2 Depth=1
	ds_write_b32 v27, v17
.LBB46_4:                               ;   in Loop: Header=BB46_2 Depth=1
	s_or_b64 exec, exec, s[36:37]
	s_waitcnt vmcnt(1)
	v_xor_b32_e32 v1, 0x80000000, v7
	v_xor_b32_e32 v0, 0x80000000, v6
	;; [unrolled: 1-line block ×4, first 2 shown]
	s_waitcnt lgkmcnt(0)
	s_barrier
	ds_write2_b64 v22, v[0:1], v[6:7] offset1:1
	s_waitcnt vmcnt(0)
	v_xor_b32_e32 v1, 0x80000000, v3
	v_xor_b32_e32 v0, 0x80000000, v2
	;; [unrolled: 1-line block ×4, first 2 shown]
	ds_write2_b64 v22, v[0:1], v[2:3] offset0:2 offset1:3
	; wave barrier
	ds_read2st64_b32 v[0:1], v23 offset1:1
	ds_read2st64_b32 v[2:3], v23 offset0:2 offset1:3
	ds_read2st64_b32 v[4:5], v23 offset0:4 offset1:5
	;; [unrolled: 1-line block ×3, first 2 shown]
	s_mov_b32 s3, 0
	s_waitcnt lgkmcnt(0)
	s_barrier
	s_waitcnt lgkmcnt(0)
	; wave barrier
	s_barrier
	s_branch .LBB46_6
.LBB46_5:                               ;   in Loop: Header=BB46_6 Depth=2
	v_lshlrev_b32_e32 v0, 2, v55
	s_barrier
	ds_write_b32 v0, v43
	v_lshlrev_b32_e32 v0, 2, v52
	ds_write_b32 v0, v42
	v_lshlrev_b32_e32 v0, 2, v49
	;; [unrolled: 2-line block ×7, first 2 shown]
	ds_write_b32 v0, v8
	s_waitcnt lgkmcnt(0)
	s_barrier
	ds_read2st64_b32 v[0:1], v23 offset1:1
	ds_read2st64_b32 v[2:3], v23 offset0:2 offset1:3
	ds_read2st64_b32 v[4:5], v23 offset0:4 offset1:5
	;; [unrolled: 1-line block ×3, first 2 shown]
	s_add_i32 s3, s3, 8
	s_waitcnt lgkmcnt(0)
	s_barrier
	s_cbranch_execz .LBB46_30
.LBB46_6:                               ;   Parent Loop BB46_2 Depth=1
                                        ; =>  This Inner Loop Header: Depth=2
	v_mov_b32_e32 v43, v0
	v_bfe_u32 v0, v43, s3, 8
	v_lshl_add_u32 v0, v0, 3, v25
	v_bfe_u32 v16, v43, s3, 1
	v_mov_b32_e32 v11, v4
	v_mov_b32_e32 v42, v1
	v_lshl_add_u32 v4, v0, 2, 32
	v_lshl_add_u64 v[0:1], v[16:17], 0, -1
	v_cmp_ne_u32_e32 vcc, 0, v16
	v_mov_b32_e32 v13, v2
	v_lshrrev_b32_e32 v2, s3, v43
	v_xor_b32_e32 v1, vcc_hi, v1
	v_xor_b32_e32 v0, vcc_lo, v0
	v_mov_b32_e32 v10, v5
	v_mov_b32_e32 v12, v3
	v_and_b32_e32 v3, exec_hi, v1
	v_and_b32_e32 v5, exec_lo, v0
	v_lshlrev_b32_e32 v1, 30, v2
	v_mov_b32_e32 v0, v17
	v_cmp_gt_i64_e32 vcc, 0, v[0:1]
	v_not_b32_e32 v0, v1
	v_ashrrev_i32_e32 v0, 31, v0
	v_xor_b32_e32 v1, vcc_hi, v0
	v_xor_b32_e32 v0, vcc_lo, v0
	v_and_b32_e32 v3, v3, v1
	v_and_b32_e32 v5, v5, v0
	v_lshlrev_b32_e32 v1, 29, v2
	v_mov_b32_e32 v0, v17
	v_cmp_gt_i64_e32 vcc, 0, v[0:1]
	v_not_b32_e32 v0, v1
	v_ashrrev_i32_e32 v0, 31, v0
	v_xor_b32_e32 v1, vcc_hi, v0
	v_xor_b32_e32 v0, vcc_lo, v0
	v_and_b32_e32 v3, v3, v1
	v_and_b32_e32 v5, v5, v0
	;; [unrolled: 9-line block ×7, first 2 shown]
	v_mbcnt_lo_u32_b32 v2, v0, 0
	v_mbcnt_hi_u32_b32 v5, v1, v2
	v_cmp_eq_u32_e32 vcc, 0, v5
	v_cmp_ne_u64_e64 s[36:37], 0, v[0:1]
	v_mov_b32_e32 v8, v7
	v_mov_b32_e32 v9, v6
	s_and_b64 s[42:43], s[36:37], vcc
	ds_write2_b64 v24, v[18:19], v[20:21] offset0:4 offset1:5
	s_waitcnt lgkmcnt(0)
	s_barrier
	s_waitcnt lgkmcnt(0)
	; wave barrier
	s_and_saveexec_b64 s[36:37], s[42:43]
	s_cbranch_execz .LBB46_8
; %bb.7:                                ;   in Loop: Header=BB46_6 Depth=2
	v_bcnt_u32_b32 v0, v0, 0
	v_bcnt_u32_b32 v0, v1, v0
	ds_write_b32 v4, v0
.LBB46_8:                               ;   in Loop: Header=BB46_6 Depth=2
	s_or_b64 exec, exec, s[36:37]
	v_bfe_u32 v0, v42, s3, 8
	v_lshlrev_b32_e32 v0, 3, v0
	v_add_lshl_u32 v0, v0, v25, 2
	v_bfe_u32 v16, v42, s3, 1
	; wave barrier
	v_add_u32_e32 v7, 32, v0
	ds_read_b32 v6, v0 offset:32
	v_lshl_add_u64 v[0:1], v[16:17], 0, -1
	v_cmp_ne_u32_e32 vcc, 0, v16
	v_lshrrev_b32_e32 v2, s3, v42
	s_nop 0
	v_xor_b32_e32 v1, vcc_hi, v1
	v_xor_b32_e32 v0, vcc_lo, v0
	v_and_b32_e32 v3, exec_hi, v1
	v_and_b32_e32 v16, exec_lo, v0
	v_lshlrev_b32_e32 v1, 30, v2
	v_mov_b32_e32 v0, v17
	v_cmp_gt_i64_e32 vcc, 0, v[0:1]
	v_not_b32_e32 v0, v1
	v_ashrrev_i32_e32 v0, 31, v0
	v_xor_b32_e32 v1, vcc_hi, v0
	v_xor_b32_e32 v0, vcc_lo, v0
	v_and_b32_e32 v3, v3, v1
	v_and_b32_e32 v16, v16, v0
	v_lshlrev_b32_e32 v1, 29, v2
	v_mov_b32_e32 v0, v17
	v_cmp_gt_i64_e32 vcc, 0, v[0:1]
	v_not_b32_e32 v0, v1
	v_ashrrev_i32_e32 v0, 31, v0
	v_xor_b32_e32 v1, vcc_hi, v0
	v_xor_b32_e32 v0, vcc_lo, v0
	v_and_b32_e32 v3, v3, v1
	v_and_b32_e32 v16, v16, v0
	;; [unrolled: 9-line block ×7, first 2 shown]
	v_mbcnt_lo_u32_b32 v2, v0, 0
	v_mbcnt_hi_u32_b32 v44, v1, v2
	v_cmp_eq_u32_e32 vcc, 0, v44
	v_cmp_ne_u64_e64 s[36:37], 0, v[0:1]
	s_and_b64 s[42:43], s[36:37], vcc
	; wave barrier
	s_and_saveexec_b64 s[36:37], s[42:43]
	s_cbranch_execz .LBB46_10
; %bb.9:                                ;   in Loop: Header=BB46_6 Depth=2
	v_bcnt_u32_b32 v0, v0, 0
	v_bcnt_u32_b32 v0, v1, v0
	s_waitcnt lgkmcnt(0)
	v_add_u32_e32 v0, v6, v0
	ds_write_b32 v7, v0
.LBB46_10:                              ;   in Loop: Header=BB46_6 Depth=2
	s_or_b64 exec, exec, s[36:37]
	v_bfe_u32 v0, v13, s3, 8
	v_lshlrev_b32_e32 v0, 3, v0
	v_add_lshl_u32 v0, v0, v25, 2
	v_bfe_u32 v16, v13, s3, 1
	; wave barrier
	v_add_u32_e32 v46, 32, v0
	ds_read_b32 v45, v0 offset:32
	v_lshl_add_u64 v[0:1], v[16:17], 0, -1
	v_cmp_ne_u32_e32 vcc, 0, v16
	v_lshrrev_b32_e32 v2, s3, v13
	s_nop 0
	v_xor_b32_e32 v1, vcc_hi, v1
	v_xor_b32_e32 v0, vcc_lo, v0
	v_and_b32_e32 v3, exec_hi, v1
	v_and_b32_e32 v16, exec_lo, v0
	v_lshlrev_b32_e32 v1, 30, v2
	v_mov_b32_e32 v0, v17
	v_cmp_gt_i64_e32 vcc, 0, v[0:1]
	v_not_b32_e32 v0, v1
	v_ashrrev_i32_e32 v0, 31, v0
	v_xor_b32_e32 v1, vcc_hi, v0
	v_xor_b32_e32 v0, vcc_lo, v0
	v_and_b32_e32 v3, v3, v1
	v_and_b32_e32 v16, v16, v0
	v_lshlrev_b32_e32 v1, 29, v2
	v_mov_b32_e32 v0, v17
	v_cmp_gt_i64_e32 vcc, 0, v[0:1]
	v_not_b32_e32 v0, v1
	v_ashrrev_i32_e32 v0, 31, v0
	v_xor_b32_e32 v1, vcc_hi, v0
	v_xor_b32_e32 v0, vcc_lo, v0
	v_and_b32_e32 v3, v3, v1
	v_and_b32_e32 v16, v16, v0
	;; [unrolled: 9-line block ×7, first 2 shown]
	v_mbcnt_lo_u32_b32 v2, v0, 0
	v_mbcnt_hi_u32_b32 v47, v1, v2
	v_cmp_eq_u32_e32 vcc, 0, v47
	v_cmp_ne_u64_e64 s[36:37], 0, v[0:1]
	s_and_b64 s[42:43], s[36:37], vcc
	; wave barrier
	s_and_saveexec_b64 s[36:37], s[42:43]
	s_cbranch_execz .LBB46_12
; %bb.11:                               ;   in Loop: Header=BB46_6 Depth=2
	v_bcnt_u32_b32 v0, v0, 0
	v_bcnt_u32_b32 v0, v1, v0
	s_waitcnt lgkmcnt(0)
	v_add_u32_e32 v0, v45, v0
	ds_write_b32 v46, v0
.LBB46_12:                              ;   in Loop: Header=BB46_6 Depth=2
	s_or_b64 exec, exec, s[36:37]
	v_bfe_u32 v0, v12, s3, 8
	v_lshlrev_b32_e32 v0, 3, v0
	v_add_lshl_u32 v0, v0, v25, 2
	v_bfe_u32 v16, v12, s3, 1
	; wave barrier
	v_add_u32_e32 v49, 32, v0
	ds_read_b32 v48, v0 offset:32
	v_lshl_add_u64 v[0:1], v[16:17], 0, -1
	v_cmp_ne_u32_e32 vcc, 0, v16
	v_lshrrev_b32_e32 v2, s3, v12
	s_nop 0
	v_xor_b32_e32 v1, vcc_hi, v1
	v_xor_b32_e32 v0, vcc_lo, v0
	v_and_b32_e32 v3, exec_hi, v1
	v_and_b32_e32 v16, exec_lo, v0
	v_lshlrev_b32_e32 v1, 30, v2
	v_mov_b32_e32 v0, v17
	v_cmp_gt_i64_e32 vcc, 0, v[0:1]
	v_not_b32_e32 v0, v1
	v_ashrrev_i32_e32 v0, 31, v0
	v_xor_b32_e32 v1, vcc_hi, v0
	v_xor_b32_e32 v0, vcc_lo, v0
	v_and_b32_e32 v3, v3, v1
	v_and_b32_e32 v16, v16, v0
	v_lshlrev_b32_e32 v1, 29, v2
	v_mov_b32_e32 v0, v17
	v_cmp_gt_i64_e32 vcc, 0, v[0:1]
	v_not_b32_e32 v0, v1
	v_ashrrev_i32_e32 v0, 31, v0
	v_xor_b32_e32 v1, vcc_hi, v0
	v_xor_b32_e32 v0, vcc_lo, v0
	v_and_b32_e32 v3, v3, v1
	v_and_b32_e32 v16, v16, v0
	;; [unrolled: 9-line block ×7, first 2 shown]
	v_mbcnt_lo_u32_b32 v2, v0, 0
	v_mbcnt_hi_u32_b32 v50, v1, v2
	v_cmp_eq_u32_e32 vcc, 0, v50
	v_cmp_ne_u64_e64 s[36:37], 0, v[0:1]
	s_and_b64 s[42:43], s[36:37], vcc
	; wave barrier
	s_and_saveexec_b64 s[36:37], s[42:43]
	s_cbranch_execz .LBB46_14
; %bb.13:                               ;   in Loop: Header=BB46_6 Depth=2
	v_bcnt_u32_b32 v0, v0, 0
	v_bcnt_u32_b32 v0, v1, v0
	s_waitcnt lgkmcnt(0)
	v_add_u32_e32 v0, v48, v0
	ds_write_b32 v49, v0
.LBB46_14:                              ;   in Loop: Header=BB46_6 Depth=2
	s_or_b64 exec, exec, s[36:37]
	v_bfe_u32 v0, v11, s3, 8
	v_lshlrev_b32_e32 v0, 3, v0
	v_add_lshl_u32 v0, v0, v25, 2
	v_bfe_u32 v16, v11, s3, 1
	; wave barrier
	v_add_u32_e32 v52, 32, v0
	ds_read_b32 v51, v0 offset:32
	v_lshl_add_u64 v[0:1], v[16:17], 0, -1
	v_cmp_ne_u32_e32 vcc, 0, v16
	v_lshrrev_b32_e32 v2, s3, v11
	s_nop 0
	v_xor_b32_e32 v1, vcc_hi, v1
	v_xor_b32_e32 v0, vcc_lo, v0
	v_and_b32_e32 v3, exec_hi, v1
	v_and_b32_e32 v16, exec_lo, v0
	v_lshlrev_b32_e32 v1, 30, v2
	v_mov_b32_e32 v0, v17
	v_cmp_gt_i64_e32 vcc, 0, v[0:1]
	v_not_b32_e32 v0, v1
	v_ashrrev_i32_e32 v0, 31, v0
	v_xor_b32_e32 v1, vcc_hi, v0
	v_xor_b32_e32 v0, vcc_lo, v0
	v_and_b32_e32 v3, v3, v1
	v_and_b32_e32 v16, v16, v0
	v_lshlrev_b32_e32 v1, 29, v2
	v_mov_b32_e32 v0, v17
	v_cmp_gt_i64_e32 vcc, 0, v[0:1]
	v_not_b32_e32 v0, v1
	v_ashrrev_i32_e32 v0, 31, v0
	v_xor_b32_e32 v1, vcc_hi, v0
	v_xor_b32_e32 v0, vcc_lo, v0
	v_and_b32_e32 v3, v3, v1
	v_and_b32_e32 v16, v16, v0
	;; [unrolled: 9-line block ×7, first 2 shown]
	v_mbcnt_lo_u32_b32 v2, v0, 0
	v_mbcnt_hi_u32_b32 v53, v1, v2
	v_cmp_eq_u32_e32 vcc, 0, v53
	v_cmp_ne_u64_e64 s[36:37], 0, v[0:1]
	s_and_b64 s[42:43], s[36:37], vcc
	; wave barrier
	s_and_saveexec_b64 s[36:37], s[42:43]
	s_cbranch_execz .LBB46_16
; %bb.15:                               ;   in Loop: Header=BB46_6 Depth=2
	v_bcnt_u32_b32 v0, v0, 0
	v_bcnt_u32_b32 v0, v1, v0
	s_waitcnt lgkmcnt(0)
	v_add_u32_e32 v0, v51, v0
	ds_write_b32 v52, v0
.LBB46_16:                              ;   in Loop: Header=BB46_6 Depth=2
	s_or_b64 exec, exec, s[36:37]
	v_bfe_u32 v0, v10, s3, 8
	v_lshlrev_b32_e32 v0, 3, v0
	v_add_lshl_u32 v0, v0, v25, 2
	v_bfe_u32 v16, v10, s3, 1
	; wave barrier
	v_add_u32_e32 v55, 32, v0
	ds_read_b32 v54, v0 offset:32
	v_lshl_add_u64 v[0:1], v[16:17], 0, -1
	v_cmp_ne_u32_e32 vcc, 0, v16
	v_lshrrev_b32_e32 v2, s3, v10
	s_nop 0
	v_xor_b32_e32 v1, vcc_hi, v1
	v_xor_b32_e32 v0, vcc_lo, v0
	v_and_b32_e32 v3, exec_hi, v1
	v_and_b32_e32 v16, exec_lo, v0
	v_lshlrev_b32_e32 v1, 30, v2
	v_mov_b32_e32 v0, v17
	v_cmp_gt_i64_e32 vcc, 0, v[0:1]
	v_not_b32_e32 v0, v1
	v_ashrrev_i32_e32 v0, 31, v0
	v_xor_b32_e32 v1, vcc_hi, v0
	v_xor_b32_e32 v0, vcc_lo, v0
	v_and_b32_e32 v3, v3, v1
	v_and_b32_e32 v16, v16, v0
	v_lshlrev_b32_e32 v1, 29, v2
	v_mov_b32_e32 v0, v17
	v_cmp_gt_i64_e32 vcc, 0, v[0:1]
	v_not_b32_e32 v0, v1
	v_ashrrev_i32_e32 v0, 31, v0
	v_xor_b32_e32 v1, vcc_hi, v0
	v_xor_b32_e32 v0, vcc_lo, v0
	v_and_b32_e32 v3, v3, v1
	v_and_b32_e32 v16, v16, v0
	;; [unrolled: 9-line block ×7, first 2 shown]
	v_mbcnt_lo_u32_b32 v2, v0, 0
	v_mbcnt_hi_u32_b32 v56, v1, v2
	v_cmp_eq_u32_e32 vcc, 0, v56
	v_cmp_ne_u64_e64 s[36:37], 0, v[0:1]
	s_and_b64 s[42:43], s[36:37], vcc
	; wave barrier
	s_and_saveexec_b64 s[36:37], s[42:43]
	s_cbranch_execz .LBB46_18
; %bb.17:                               ;   in Loop: Header=BB46_6 Depth=2
	v_bcnt_u32_b32 v0, v0, 0
	v_bcnt_u32_b32 v0, v1, v0
	s_waitcnt lgkmcnt(0)
	v_add_u32_e32 v0, v54, v0
	ds_write_b32 v55, v0
.LBB46_18:                              ;   in Loop: Header=BB46_6 Depth=2
	s_or_b64 exec, exec, s[36:37]
	v_bfe_u32 v0, v9, s3, 8
	v_lshlrev_b32_e32 v0, 3, v0
	v_add_lshl_u32 v0, v0, v25, 2
	v_bfe_u32 v16, v9, s3, 1
	; wave barrier
	v_add_u32_e32 v58, 32, v0
	ds_read_b32 v57, v0 offset:32
	v_lshl_add_u64 v[0:1], v[16:17], 0, -1
	v_cmp_ne_u32_e32 vcc, 0, v16
	v_lshrrev_b32_e32 v2, s3, v9
	s_nop 0
	v_xor_b32_e32 v1, vcc_hi, v1
	v_xor_b32_e32 v0, vcc_lo, v0
	v_and_b32_e32 v3, exec_hi, v1
	v_and_b32_e32 v16, exec_lo, v0
	v_lshlrev_b32_e32 v1, 30, v2
	v_mov_b32_e32 v0, v17
	v_cmp_gt_i64_e32 vcc, 0, v[0:1]
	v_not_b32_e32 v0, v1
	v_ashrrev_i32_e32 v0, 31, v0
	v_xor_b32_e32 v1, vcc_hi, v0
	v_xor_b32_e32 v0, vcc_lo, v0
	v_and_b32_e32 v3, v3, v1
	v_and_b32_e32 v16, v16, v0
	v_lshlrev_b32_e32 v1, 29, v2
	v_mov_b32_e32 v0, v17
	v_cmp_gt_i64_e32 vcc, 0, v[0:1]
	v_not_b32_e32 v0, v1
	v_ashrrev_i32_e32 v0, 31, v0
	v_xor_b32_e32 v1, vcc_hi, v0
	v_xor_b32_e32 v0, vcc_lo, v0
	v_and_b32_e32 v3, v3, v1
	v_and_b32_e32 v16, v16, v0
	;; [unrolled: 9-line block ×7, first 2 shown]
	v_mbcnt_lo_u32_b32 v2, v0, 0
	v_mbcnt_hi_u32_b32 v59, v1, v2
	v_cmp_eq_u32_e32 vcc, 0, v59
	v_cmp_ne_u64_e64 s[36:37], 0, v[0:1]
	s_and_b64 s[42:43], s[36:37], vcc
	; wave barrier
	s_and_saveexec_b64 s[36:37], s[42:43]
	s_cbranch_execz .LBB46_20
; %bb.19:                               ;   in Loop: Header=BB46_6 Depth=2
	v_bcnt_u32_b32 v0, v0, 0
	v_bcnt_u32_b32 v0, v1, v0
	s_waitcnt lgkmcnt(0)
	v_add_u32_e32 v0, v57, v0
	ds_write_b32 v58, v0
.LBB46_20:                              ;   in Loop: Header=BB46_6 Depth=2
	s_or_b64 exec, exec, s[36:37]
	v_bfe_u32 v0, v8, s3, 8
	v_lshlrev_b32_e32 v0, 3, v0
	v_add_lshl_u32 v0, v0, v25, 2
	v_bfe_u32 v16, v8, s3, 1
	; wave barrier
	v_add_u32_e32 v61, 32, v0
	ds_read_b32 v60, v0 offset:32
	v_lshl_add_u64 v[0:1], v[16:17], 0, -1
	v_cmp_ne_u32_e32 vcc, 0, v16
	v_lshrrev_b32_e32 v2, s3, v8
	s_nop 0
	v_xor_b32_e32 v1, vcc_hi, v1
	v_xor_b32_e32 v0, vcc_lo, v0
	v_and_b32_e32 v3, exec_hi, v1
	v_and_b32_e32 v16, exec_lo, v0
	v_lshlrev_b32_e32 v1, 30, v2
	v_mov_b32_e32 v0, v17
	v_cmp_gt_i64_e32 vcc, 0, v[0:1]
	v_not_b32_e32 v0, v1
	v_ashrrev_i32_e32 v0, 31, v0
	v_xor_b32_e32 v1, vcc_hi, v0
	v_xor_b32_e32 v0, vcc_lo, v0
	v_and_b32_e32 v3, v3, v1
	v_and_b32_e32 v16, v16, v0
	v_lshlrev_b32_e32 v1, 29, v2
	v_mov_b32_e32 v0, v17
	v_cmp_gt_i64_e32 vcc, 0, v[0:1]
	v_not_b32_e32 v0, v1
	v_ashrrev_i32_e32 v0, 31, v0
	v_xor_b32_e32 v1, vcc_hi, v0
	v_xor_b32_e32 v0, vcc_lo, v0
	v_and_b32_e32 v3, v3, v1
	v_and_b32_e32 v16, v16, v0
	;; [unrolled: 9-line block ×7, first 2 shown]
	v_mbcnt_lo_u32_b32 v2, v0, 0
	v_mbcnt_hi_u32_b32 v16, v1, v2
	v_cmp_eq_u32_e32 vcc, 0, v16
	v_cmp_ne_u64_e64 s[36:37], 0, v[0:1]
	s_and_b64 s[42:43], s[36:37], vcc
	; wave barrier
	s_and_saveexec_b64 s[36:37], s[42:43]
	s_cbranch_execz .LBB46_22
; %bb.21:                               ;   in Loop: Header=BB46_6 Depth=2
	v_bcnt_u32_b32 v0, v0, 0
	v_bcnt_u32_b32 v0, v1, v0
	s_waitcnt lgkmcnt(0)
	v_add_u32_e32 v0, v60, v0
	ds_write_b32 v61, v0
.LBB46_22:                              ;   in Loop: Header=BB46_6 Depth=2
	s_or_b64 exec, exec, s[36:37]
	; wave barrier
	s_waitcnt lgkmcnt(0)
	s_barrier
	ds_read2_b64 v[0:3], v24 offset0:4 offset1:5
	s_waitcnt lgkmcnt(0)
	v_add_u32_e32 v62, v1, v0
	v_add3_u32 v3, v62, v2, v3
	s_nop 1
	v_mov_b32_dpp v62, v3 row_shr:1 row_mask:0xf bank_mask:0xf
	v_cndmask_b32_e64 v62, v62, 0, s[34:35]
	v_add_u32_e32 v3, v62, v3
	s_nop 1
	v_mov_b32_dpp v62, v3 row_shr:2 row_mask:0xf bank_mask:0xf
	v_cndmask_b32_e64 v62, 0, v62, s[4:5]
	v_add_u32_e32 v3, v3, v62
	;; [unrolled: 4-line block ×4, first 2 shown]
	s_nop 1
	v_mov_b32_dpp v62, v3 row_bcast:15 row_mask:0xf bank_mask:0xf
	v_cndmask_b32_e64 v62, v62, 0, s[10:11]
	v_add_u32_e32 v3, v3, v62
	s_nop 1
	v_mov_b32_dpp v62, v3 row_bcast:31 row_mask:0xf bank_mask:0xf
	v_cndmask_b32_e64 v62, 0, v62, s[12:13]
	v_add_u32_e32 v3, v3, v62
	s_and_saveexec_b64 s[36:37], s[14:15]
	s_cbranch_execz .LBB46_24
; %bb.23:                               ;   in Loop: Header=BB46_6 Depth=2
	ds_write_b32 v28, v3
.LBB46_24:                              ;   in Loop: Header=BB46_6 Depth=2
	s_or_b64 exec, exec, s[36:37]
	s_waitcnt lgkmcnt(0)
	s_barrier
	s_and_saveexec_b64 s[36:37], s[16:17]
	s_cbranch_execz .LBB46_26
; %bb.25:                               ;   in Loop: Header=BB46_6 Depth=2
	ds_read_b32 v62, v29
	s_waitcnt lgkmcnt(0)
	s_nop 0
	v_mov_b32_dpp v63, v62 row_shr:1 row_mask:0xf bank_mask:0xf
	v_cndmask_b32_e64 v63, v63, 0, s[26:27]
	v_add_u32_e32 v62, v63, v62
	s_nop 1
	v_mov_b32_dpp v63, v62 row_shr:2 row_mask:0xf bank_mask:0xf
	v_cndmask_b32_e64 v63, 0, v63, s[28:29]
	v_add_u32_e32 v62, v62, v63
	;; [unrolled: 4-line block ×3, first 2 shown]
	ds_write_b32 v29, v62
.LBB46_26:                              ;   in Loop: Header=BB46_6 Depth=2
	s_or_b64 exec, exec, s[36:37]
	v_mov_b32_e32 v62, 0
	s_waitcnt lgkmcnt(0)
	s_barrier
	s_and_saveexec_b64 s[36:37], s[18:19]
	s_cbranch_execz .LBB46_28
; %bb.27:                               ;   in Loop: Header=BB46_6 Depth=2
	ds_read_b32 v62, v30
.LBB46_28:                              ;   in Loop: Header=BB46_6 Depth=2
	s_or_b64 exec, exec, s[36:37]
	s_waitcnt lgkmcnt(0)
	v_add_u32_e32 v3, v62, v3
	ds_bpermute_b32 v3, v26, v3
	s_cmp_gt_u32 s3, 23
	s_waitcnt lgkmcnt(0)
	v_cndmask_b32_e64 v3, v3, v62, s[20:21]
	v_cndmask_b32_e64 v62, v3, 0, s[22:23]
	v_add_u32_e32 v63, v62, v0
	v_add_u32_e32 v0, v63, v1
	;; [unrolled: 1-line block ×3, first 2 shown]
	ds_write2_b64 v24, v[62:63], v[0:1] offset0:4 offset1:5
	s_waitcnt lgkmcnt(0)
	s_barrier
	ds_read_b32 v0, v4
	ds_read_b32 v1, v7
	;; [unrolled: 1-line block ×8, first 2 shown]
	s_waitcnt lgkmcnt(7)
	v_add_u32_e32 v55, v0, v5
	s_waitcnt lgkmcnt(6)
	v_add3_u32 v52, v44, v6, v1
	s_waitcnt lgkmcnt(5)
	v_add3_u32 v49, v47, v45, v2
	;; [unrolled: 2-line block ×7, first 2 shown]
	s_cbranch_scc0 .LBB46_5
; %bb.29:                               ;   in Loop: Header=BB46_2 Depth=1
                                        ; implicit-def: $vgpr7
                                        ; implicit-def: $vgpr5
                                        ; implicit-def: $vgpr3
                                        ; implicit-def: $vgpr1
                                        ; implicit-def: $sgpr3
.LBB46_30:                              ;   in Loop: Header=BB46_2 Depth=1
	v_lshlrev_b32_e32 v0, 2, v55
	s_barrier
	ds_write_b32 v0, v43
	v_lshlrev_b32_e32 v0, 2, v52
	ds_write_b32 v0, v42
	v_lshlrev_b32_e32 v0, 2, v49
	;; [unrolled: 2-line block ×7, first 2 shown]
	ds_write_b32 v0, v8
	s_waitcnt lgkmcnt(0)
	s_barrier
	ds_read2_b64 v[10:13], v31 offset1:1
	ds_read2_b64 v[0:3], v31 offset0:2 offset1:3
	s_waitcnt lgkmcnt(0)
	s_barrier
	s_and_saveexec_b64 s[36:37], s[0:1]
	s_cbranch_execz .LBB46_32
; %bb.31:                               ;   in Loop: Header=BB46_2 Depth=1
	ds_write2st64_b32 v39, v41, v41 offset0:16 offset1:24
.LBB46_32:                              ;   in Loop: Header=BB46_2 Depth=1
	s_or_b64 exec, exec, s[36:37]
	v_xor_b32_e32 v5, 0x80000000, v3
	v_xor_b32_e32 v4, 0x80000000, v2
	v_cmp_ne_u32_e32 vcc, v2, v3
	v_mov_b32_e32 v2, v5
	s_waitcnt lgkmcnt(0)
	s_barrier
	ds_write_b32 v29, v5
	s_and_saveexec_b64 s[36:37], vcc
	s_cbranch_execz .LBB46_34
; %bb.33:                               ;   in Loop: Header=BB46_2 Depth=1
	v_lshlrev_b32_e32 v2, 2, v5
	v_lshlrev_b32_e32 v3, 2, v4
	ds_write_b32 v2, v38 offset:4096
	ds_write_b32 v3, v38 offset:6144
	v_mov_b32_e32 v2, v4
.LBB46_34:                              ;   in Loop: Header=BB46_2 Depth=1
	s_or_b64 exec, exec, s[36:37]
	v_xor_b32_e32 v3, 0x80000000, v1
	v_cmp_ne_u32_e32 vcc, v3, v2
	v_lshlrev_b32_e32 v6, 2, v3
	s_and_saveexec_b64 s[36:37], vcc
	s_cbranch_execz .LBB46_36
; %bb.35:                               ;   in Loop: Header=BB46_2 Depth=1
	v_lshlrev_b32_e32 v2, 2, v2
	ds_write_b32 v2, v37 offset:4096
	ds_write_b32 v6, v37 offset:6144
.LBB46_36:                              ;   in Loop: Header=BB46_2 Depth=1
	s_or_b64 exec, exec, s[36:37]
	v_xor_b32_e32 v2, 0x80000000, v0
	v_cmp_ne_u32_e32 vcc, v0, v1
	v_lshlrev_b32_e32 v1, 2, v2
	s_and_saveexec_b64 s[36:37], vcc
	s_cbranch_execz .LBB46_38
; %bb.37:                               ;   in Loop: Header=BB46_2 Depth=1
	ds_write_b32 v6, v36 offset:4096
	ds_write_b32 v1, v36 offset:6144
.LBB46_38:                              ;   in Loop: Header=BB46_2 Depth=1
	s_or_b64 exec, exec, s[36:37]
	v_xor_b32_e32 v9, 0x80000000, v13
	v_xor_b32_e32 v8, 0x80000000, v12
	v_cmp_ne_u32_e32 vcc, v13, v0
	v_lshlrev_b32_e32 v6, 2, v9
	s_and_saveexec_b64 s[36:37], vcc
	s_cbranch_execz .LBB46_40
; %bb.39:                               ;   in Loop: Header=BB46_2 Depth=1
	ds_write_b32 v1, v35 offset:4096
	ds_write_b32 v6, v35 offset:6144
.LBB46_40:                              ;   in Loop: Header=BB46_2 Depth=1
	s_or_b64 exec, exec, s[36:37]
	v_cmp_ne_u32_e32 vcc, v12, v13
	v_lshlrev_b32_e32 v0, 2, v8
	s_and_saveexec_b64 s[36:37], vcc
	s_cbranch_execz .LBB46_42
; %bb.41:                               ;   in Loop: Header=BB46_2 Depth=1
	ds_write_b32 v6, v34 offset:4096
	ds_write_b32 v0, v34 offset:6144
.LBB46_42:                              ;   in Loop: Header=BB46_2 Depth=1
	s_or_b64 exec, exec, s[36:37]
	v_xor_b32_e32 v7, 0x80000000, v11
	v_xor_b32_e32 v6, 0x80000000, v10
	v_cmp_ne_u32_e32 vcc, v11, v12
	v_lshlrev_b32_e32 v1, 2, v7
	s_and_saveexec_b64 s[36:37], vcc
	s_cbranch_execz .LBB46_44
; %bb.43:                               ;   in Loop: Header=BB46_2 Depth=1
	ds_write_b32 v0, v33 offset:4096
	ds_write_b32 v1, v33 offset:6144
.LBB46_44:                              ;   in Loop: Header=BB46_2 Depth=1
	s_or_b64 exec, exec, s[36:37]
	v_cmp_ne_u32_e32 vcc, v10, v11
	v_lshlrev_b32_e32 v0, 2, v6
	s_and_saveexec_b64 s[36:37], vcc
	s_cbranch_execz .LBB46_46
; %bb.45:                               ;   in Loop: Header=BB46_2 Depth=1
	ds_write_b32 v1, v32 offset:4096
	ds_write_b32 v0, v32 offset:6144
.LBB46_46:                              ;   in Loop: Header=BB46_2 Depth=1
	s_or_b64 exec, exec, s[36:37]
	s_waitcnt lgkmcnt(0)
	s_barrier
	s_and_saveexec_b64 s[36:37], s[24:25]
	s_cbranch_execz .LBB46_49
; %bb.47:                               ;   in Loop: Header=BB46_2 Depth=1
	ds_read_b32 v1, v40
	s_waitcnt lgkmcnt(0)
	v_cmp_ne_u32_e32 vcc, v1, v6
	s_and_b64 exec, exec, vcc
	s_cbranch_execz .LBB46_49
; %bb.48:                               ;   in Loop: Header=BB46_2 Depth=1
	ds_write_b32 v0, v15 offset:4096
	ds_read_b32 v1, v40
	s_waitcnt lgkmcnt(0)
	v_lshlrev_b32_e32 v1, 2, v1
	ds_write_b32 v1, v15 offset:6144
.LBB46_49:                              ;   in Loop: Header=BB46_2 Depth=1
	s_or_b64 exec, exec, s[36:37]
	s_waitcnt lgkmcnt(0)
	s_barrier
	s_and_saveexec_b64 s[36:37], s[22:23]
	s_cbranch_execz .LBB46_51
; %bb.50:                               ;   in Loop: Header=BB46_2 Depth=1
	ds_write_b32 v0, v17 offset:4096
.LBB46_51:                              ;   in Loop: Header=BB46_2 Depth=1
	s_or_b64 exec, exec, s[36:37]
	s_waitcnt lgkmcnt(0)
	s_barrier
	s_and_saveexec_b64 s[36:37], s[0:1]
	s_cbranch_execz .LBB46_1
; %bb.52:                               ;   in Loop: Header=BB46_2 Depth=1
	ds_read2st64_b32 v[0:1], v39 offset0:16 offset1:24
	ds_read_b32 v10, v27
	s_waitcnt lgkmcnt(1)
	v_sub_u32_e32 v0, v1, v0
	s_waitcnt lgkmcnt(0)
	v_add_u32_e32 v0, v0, v10
	ds_write_b32 v27, v0
	s_branch .LBB46_1
.LBB46_53:
	s_and_saveexec_b64 s[4:5], s[0:1]
	s_cbranch_execz .LBB46_55
; %bb.54:
	ds_read_b32 v4, v27
	v_mov_b32_e32 v0, s38
	v_mov_b32_e32 v1, s39
	v_lshl_or_b32 v2, s2, 9, v14
	v_mov_b32_e32 v3, 0
	v_lshl_add_u64 v[0:1], v[2:3], 2, v[0:1]
	s_waitcnt lgkmcnt(0)
	global_store_dword v[0:1], v4, off
.LBB46_55:
	s_endpgm
	.section	.rodata,"a",@progbits
	.p2align	6, 0x0
	.amdhsa_kernel _Z6kernelI9histogramILN6hipcub23BlockHistogramAlgorithmE1EEiLj512ELj8ELj512ELj100EEvPKT0_PS4_
		.amdhsa_group_segment_fixed_size 18432
		.amdhsa_private_segment_fixed_size 0
		.amdhsa_kernarg_size 272
		.amdhsa_user_sgpr_count 2
		.amdhsa_user_sgpr_dispatch_ptr 0
		.amdhsa_user_sgpr_queue_ptr 0
		.amdhsa_user_sgpr_kernarg_segment_ptr 1
		.amdhsa_user_sgpr_dispatch_id 0
		.amdhsa_user_sgpr_kernarg_preload_length 0
		.amdhsa_user_sgpr_kernarg_preload_offset 0
		.amdhsa_user_sgpr_private_segment_size 0
		.amdhsa_uses_dynamic_stack 0
		.amdhsa_enable_private_segment 0
		.amdhsa_system_sgpr_workgroup_id_x 1
		.amdhsa_system_sgpr_workgroup_id_y 0
		.amdhsa_system_sgpr_workgroup_id_z 0
		.amdhsa_system_sgpr_workgroup_info 0
		.amdhsa_system_vgpr_workitem_id 2
		.amdhsa_next_free_vgpr 64
		.amdhsa_next_free_sgpr 44
		.amdhsa_accum_offset 64
		.amdhsa_reserve_vcc 1
		.amdhsa_float_round_mode_32 0
		.amdhsa_float_round_mode_16_64 0
		.amdhsa_float_denorm_mode_32 3
		.amdhsa_float_denorm_mode_16_64 3
		.amdhsa_dx10_clamp 1
		.amdhsa_ieee_mode 1
		.amdhsa_fp16_overflow 0
		.amdhsa_tg_split 0
		.amdhsa_exception_fp_ieee_invalid_op 0
		.amdhsa_exception_fp_denorm_src 0
		.amdhsa_exception_fp_ieee_div_zero 0
		.amdhsa_exception_fp_ieee_overflow 0
		.amdhsa_exception_fp_ieee_underflow 0
		.amdhsa_exception_fp_ieee_inexact 0
		.amdhsa_exception_int_div_zero 0
	.end_amdhsa_kernel
	.section	.text._Z6kernelI9histogramILN6hipcub23BlockHistogramAlgorithmE1EEiLj512ELj8ELj512ELj100EEvPKT0_PS4_,"axG",@progbits,_Z6kernelI9histogramILN6hipcub23BlockHistogramAlgorithmE1EEiLj512ELj8ELj512ELj100EEvPKT0_PS4_,comdat
.Lfunc_end46:
	.size	_Z6kernelI9histogramILN6hipcub23BlockHistogramAlgorithmE1EEiLj512ELj8ELj512ELj100EEvPKT0_PS4_, .Lfunc_end46-_Z6kernelI9histogramILN6hipcub23BlockHistogramAlgorithmE1EEiLj512ELj8ELj512ELj100EEvPKT0_PS4_
                                        ; -- End function
	.section	.AMDGPU.csdata,"",@progbits
; Kernel info:
; codeLenInByte = 5368
; NumSgprs: 50
; NumVgprs: 64
; NumAgprs: 0
; TotalNumVgprs: 64
; ScratchSize: 0
; MemoryBound: 0
; FloatMode: 240
; IeeeMode: 1
; LDSByteSize: 18432 bytes/workgroup (compile time only)
; SGPRBlocks: 6
; VGPRBlocks: 7
; NumSGPRsForWavesPerEU: 50
; NumVGPRsForWavesPerEU: 64
; AccumOffset: 64
; Occupancy: 6
; WaveLimiterHint : 0
; COMPUTE_PGM_RSRC2:SCRATCH_EN: 0
; COMPUTE_PGM_RSRC2:USER_SGPR: 2
; COMPUTE_PGM_RSRC2:TRAP_HANDLER: 0
; COMPUTE_PGM_RSRC2:TGID_X_EN: 1
; COMPUTE_PGM_RSRC2:TGID_Y_EN: 0
; COMPUTE_PGM_RSRC2:TGID_Z_EN: 0
; COMPUTE_PGM_RSRC2:TIDIG_COMP_CNT: 2
; COMPUTE_PGM_RSRC3_GFX90A:ACCUM_OFFSET: 15
; COMPUTE_PGM_RSRC3_GFX90A:TG_SPLIT: 0
	.section	.text._Z6kernelI9histogramILN6hipcub23BlockHistogramAlgorithmE1EEiLj512ELj16ELj512ELj100EEvPKT0_PS4_,"axG",@progbits,_Z6kernelI9histogramILN6hipcub23BlockHistogramAlgorithmE1EEiLj512ELj16ELj512ELj100EEvPKT0_PS4_,comdat
	.protected	_Z6kernelI9histogramILN6hipcub23BlockHistogramAlgorithmE1EEiLj512ELj16ELj512ELj100EEvPKT0_PS4_ ; -- Begin function _Z6kernelI9histogramILN6hipcub23BlockHistogramAlgorithmE1EEiLj512ELj16ELj512ELj100EEvPKT0_PS4_
	.globl	_Z6kernelI9histogramILN6hipcub23BlockHistogramAlgorithmE1EEiLj512ELj16ELj512ELj100EEvPKT0_PS4_
	.p2align	8
	.type	_Z6kernelI9histogramILN6hipcub23BlockHistogramAlgorithmE1EEiLj512ELj16ELj512ELj100EEvPKT0_PS4_,@function
_Z6kernelI9histogramILN6hipcub23BlockHistogramAlgorithmE1EEiLj512ELj16ELj512ELj100EEvPKT0_PS4_: ; @_Z6kernelI9histogramILN6hipcub23BlockHistogramAlgorithmE1EEiLj512ELj16ELj512ELj100EEvPKT0_PS4_
; %bb.0:
	s_load_dwordx4 s[36:39], s[0:1], 0x0
	s_load_dword s3, s[0:1], 0x1c
	v_and_b32_e32 v16, 0x3ff, v0
	v_lshlrev_b32_e32 v17, 4, v16
	v_lshl_or_b32 v18, s2, 13, v17
	s_waitcnt lgkmcnt(0)
	v_mov_b32_e32 v2, s36
	v_mov_b32_e32 v3, s37
	;; [unrolled: 1-line block ×3, first 2 shown]
	v_lshl_add_u64 v[14:15], v[18:19], 2, v[2:3]
	global_load_dwordx4 v[2:5], v[14:15], off
	global_load_dwordx4 v[6:9], v[14:15], off offset:16
	global_load_dwordx4 v[10:13], v[14:15], off offset:32
	;; [unrolled: 1-line block ×3, first 2 shown]
	v_mbcnt_lo_u32_b32 v1, -1, 0
	v_mbcnt_hi_u32_b32 v1, -1, v1
	v_and_b32_e32 v27, 16, v1
	v_cmp_eq_u32_e64 s[22:23], 0, v27
	v_mad_i32_i24 v27, v16, -12, v17
	s_movk_i32 s33, 0xffc4
	v_add_u32_e32 v28, -1, v1
	v_and_b32_e32 v29, 64, v1
	v_mad_u32_u24 v46, v16, 60, v27
	s_movk_i32 s14, 0x1c00
	v_mov_b32_e32 v14, 0x8000
	v_bfe_u32 v15, v0, 10, 10
	v_bfe_u32 v0, v0, 20, 10
	v_and_b32_e32 v18, 0x1c0, v16
	v_cmp_lt_i32_e32 vcc, v28, v29
	v_mad_i32_i24 v47, v16, s33, v46
	s_lshr_b32 s33, s3, 16
	v_and_b32_e32 v26, 15, v1
	v_cmp_lt_u32_e64 s[34:35], 31, v1
	v_cmp_eq_u32_e64 s[8:9], 0, v1
	v_and_b32_e32 v31, 7, v1
	v_lshl_or_b32 v24, v16, 2, v14
	v_add_lshl_u32 v25, v1, v18, 6
	v_and_or_b32 v14, v17, s14, v1
	v_cndmask_b32_e32 v1, v28, v1, vcc
	s_and_b32 s3, s3, 0xffff
	v_mad_u32_u24 v0, v0, s33, v15
	s_mov_b32 s40, 0
	v_lshrrev_b32_e32 v30, 4, v16
	v_lshlrev_b32_e32 v44, 2, v1
	v_mad_u64_u32 v[0:1], s[36:37], v0, s3, v[16:17]
	s_movk_i32 s0, 0x200
	v_cmp_eq_u32_e64 s[14:15], 0, v26
	v_cmp_lt_u32_e64 s[16:17], 1, v26
	v_cmp_lt_u32_e64 s[18:19], 3, v26
	;; [unrolled: 1-line block ×3, first 2 shown]
	v_or_b32_e32 v18, 63, v18
	v_and_b32_e32 v26, 28, v30
	s_mov_b32 s41, s40
	s_mov_b32 s36, s40
	;; [unrolled: 1-line block ×3, first 2 shown]
	v_cmp_gt_u32_e64 s[0:1], s0, v16
	v_cmp_gt_u32_e64 s[4:5], 8, v16
	v_cmp_lt_u32_e64 s[6:7], 63, v16
	v_cmp_eq_u32_e64 s[10:11], 0, v16
	v_cmp_ne_u32_e64 s[12:13], 0, v16
	v_cmp_eq_u32_e64 s[24:25], 0, v31
	v_cmp_lt_u32_e64 s[26:27], 1, v31
	v_cmp_lt_u32_e64 s[28:29], 3, v31
	v_or_b32_e32 v28, 1, v17
	v_or_b32_e32 v29, 2, v17
	;; [unrolled: 1-line block ×15, first 2 shown]
	v_lshlrev_b32_e32 v43, 2, v14
	v_cmp_eq_u32_e64 s[30:31], v18, v16
	v_add_u32_e32 v45, -4, v26
	v_add_u32_e32 v48, -4, v47
	v_lshrrev_b32_e32 v49, 6, v0
	v_mov_b32_e32 v50, 0x2000
	s_waitcnt vmcnt(3)
	v_xor_b32_e32 v1, 0x80000000, v3
	v_xor_b32_e32 v0, 0x80000000, v2
	v_xor_b32_e32 v3, 0x80000000, v5
	v_xor_b32_e32 v2, 0x80000000, v4
	s_waitcnt vmcnt(2)
	v_xor_b32_e32 v5, 0x80000000, v7
	v_xor_b32_e32 v4, 0x80000000, v6
	v_xor_b32_e32 v7, 0x80000000, v9
	v_xor_b32_e32 v6, 0x80000000, v8
	s_waitcnt vmcnt(1)
	v_xor_b32_e32 v9, 0x80000000, v11
	v_xor_b32_e32 v8, 0x80000000, v10
	v_xor_b32_e32 v11, 0x80000000, v13
	v_xor_b32_e32 v10, 0x80000000, v12
	s_waitcnt vmcnt(0)
	v_xor_b32_e32 v13, 0x80000000, v21
	v_xor_b32_e32 v12, 0x80000000, v20
	v_xor_b32_e32 v15, 0x80000000, v23
	v_xor_b32_e32 v14, 0x80000000, v22
	v_mov_b64_e32 v[20:21], s[40:41]
	v_mov_b64_e32 v[22:23], s[36:37]
	s_branch .LBB47_2
.LBB47_1:                               ;   in Loop: Header=BB47_2 Depth=1
	s_or_b64 exec, exec, s[36:37]
	s_add_i32 s40, s40, 1
	s_cmpk_eq_i32 s40, 0x64
	s_cbranch_scc1 .LBB47_85
.LBB47_2:                               ; =>This Loop Header: Depth=1
                                        ;     Child Loop BB47_6 Depth 2
	s_and_saveexec_b64 s[36:37], s[0:1]
	s_cbranch_execz .LBB47_4
; %bb.3:                                ;   in Loop: Header=BB47_2 Depth=1
	ds_write_b32 v24, v19
.LBB47_4:                               ;   in Loop: Header=BB47_2 Depth=1
	s_or_b64 exec, exec, s[36:37]
	s_waitcnt lgkmcnt(0)
	s_barrier
	ds_write2_b64 v25, v[0:1], v[2:3] offset1:1
	ds_write2_b64 v25, v[4:5], v[6:7] offset0:2 offset1:3
	ds_write2_b64 v25, v[8:9], v[10:11] offset0:4 offset1:5
	;; [unrolled: 1-line block ×3, first 2 shown]
	; wave barrier
	ds_read2st64_b32 v[0:1], v43 offset1:1
	ds_read2st64_b32 v[2:3], v43 offset0:2 offset1:3
	ds_read2st64_b32 v[4:5], v43 offset0:4 offset1:5
	;; [unrolled: 1-line block ×7, first 2 shown]
	s_mov_b32 s3, 0
	s_waitcnt lgkmcnt(0)
	s_barrier
	s_waitcnt lgkmcnt(0)
	; wave barrier
	s_barrier
	s_branch .LBB47_6
.LBB47_5:                               ;   in Loop: Header=BB47_6 Depth=2
	v_lshlrev_b32_e32 v0, 2, v102
	s_barrier
	ds_write_b32 v0, v66
	v_lshlrev_b32_e32 v0, 2, v101
	ds_write_b32 v0, v65
	v_lshlrev_b32_e32 v0, 2, v76
	;; [unrolled: 2-line block ×15, first 2 shown]
	ds_write_b32 v0, v51
	s_waitcnt lgkmcnt(0)
	s_barrier
	ds_read2st64_b32 v[0:1], v43 offset1:1
	ds_read2st64_b32 v[2:3], v43 offset0:2 offset1:3
	ds_read2st64_b32 v[4:5], v43 offset0:4 offset1:5
	;; [unrolled: 1-line block ×7, first 2 shown]
	s_add_i32 s3, s3, 8
	s_waitcnt lgkmcnt(0)
	s_barrier
	s_cbranch_execz .LBB47_46
.LBB47_6:                               ;   Parent Loop BB47_2 Depth=1
                                        ; =>  This Inner Loop Header: Depth=2
	v_mov_b32_e32 v66, v0
	v_bfe_u32 v0, v66, s3, 8
	v_lshl_add_u32 v0, v0, 3, v49
	v_bfe_u32 v18, v66, s3, 1
	v_mov_b32_e32 v65, v1
	v_mov_b32_e32 v62, v4
	v_lshl_add_u32 v4, v0, 2, 32
	v_lshl_add_u64 v[0:1], v[18:19], 0, -1
	v_cmp_ne_u32_e32 vcc, 0, v18
	v_mov_b32_e32 v64, v2
	v_lshrrev_b32_e32 v2, s3, v66
	v_xor_b32_e32 v1, vcc_hi, v1
	v_xor_b32_e32 v0, vcc_lo, v0
	v_mov_b32_e32 v63, v3
	v_mov_b32_e32 v61, v5
	v_and_b32_e32 v3, exec_hi, v1
	v_and_b32_e32 v5, exec_lo, v0
	v_lshlrev_b32_e32 v1, 30, v2
	v_mov_b32_e32 v0, v19
	v_cmp_gt_i64_e32 vcc, 0, v[0:1]
	v_not_b32_e32 v0, v1
	v_ashrrev_i32_e32 v0, 31, v0
	v_xor_b32_e32 v1, vcc_hi, v0
	v_xor_b32_e32 v0, vcc_lo, v0
	v_and_b32_e32 v3, v3, v1
	v_and_b32_e32 v5, v5, v0
	v_lshlrev_b32_e32 v1, 29, v2
	v_mov_b32_e32 v0, v19
	v_cmp_gt_i64_e32 vcc, 0, v[0:1]
	v_not_b32_e32 v0, v1
	v_ashrrev_i32_e32 v0, 31, v0
	v_xor_b32_e32 v1, vcc_hi, v0
	v_xor_b32_e32 v0, vcc_lo, v0
	v_and_b32_e32 v3, v3, v1
	v_and_b32_e32 v5, v5, v0
	;; [unrolled: 9-line block ×7, first 2 shown]
	v_mbcnt_lo_u32_b32 v2, v0, 0
	v_mbcnt_hi_u32_b32 v5, v1, v2
	v_cmp_eq_u32_e32 vcc, 0, v5
	v_cmp_ne_u64_e64 s[36:37], 0, v[0:1]
	v_mov_b32_e32 v60, v6
	v_mov_b32_e32 v59, v7
	;; [unrolled: 1-line block ×10, first 2 shown]
	s_and_b64 s[42:43], s[36:37], vcc
	ds_write2_b64 v17, v[20:21], v[22:23] offset0:4 offset1:5
	s_waitcnt lgkmcnt(0)
	s_barrier
	s_waitcnt lgkmcnt(0)
	; wave barrier
	s_and_saveexec_b64 s[36:37], s[42:43]
	s_cbranch_execz .LBB47_8
; %bb.7:                                ;   in Loop: Header=BB47_6 Depth=2
	v_bcnt_u32_b32 v0, v0, 0
	v_bcnt_u32_b32 v0, v1, v0
	ds_write_b32 v4, v0
.LBB47_8:                               ;   in Loop: Header=BB47_6 Depth=2
	s_or_b64 exec, exec, s[36:37]
	v_bfe_u32 v0, v65, s3, 8
	v_lshlrev_b32_e32 v0, 3, v0
	v_add_lshl_u32 v0, v0, v49, 2
	v_bfe_u32 v18, v65, s3, 1
	; wave barrier
	v_add_u32_e32 v7, 32, v0
	ds_read_b32 v6, v0 offset:32
	v_lshl_add_u64 v[0:1], v[18:19], 0, -1
	v_cmp_ne_u32_e32 vcc, 0, v18
	v_lshrrev_b32_e32 v2, s3, v65
	s_nop 0
	v_xor_b32_e32 v1, vcc_hi, v1
	v_xor_b32_e32 v0, vcc_lo, v0
	v_and_b32_e32 v3, exec_hi, v1
	v_and_b32_e32 v8, exec_lo, v0
	v_lshlrev_b32_e32 v1, 30, v2
	v_mov_b32_e32 v0, v19
	v_cmp_gt_i64_e32 vcc, 0, v[0:1]
	v_not_b32_e32 v0, v1
	v_ashrrev_i32_e32 v0, 31, v0
	v_xor_b32_e32 v1, vcc_hi, v0
	v_xor_b32_e32 v0, vcc_lo, v0
	v_and_b32_e32 v3, v3, v1
	v_and_b32_e32 v8, v8, v0
	v_lshlrev_b32_e32 v1, 29, v2
	v_mov_b32_e32 v0, v19
	v_cmp_gt_i64_e32 vcc, 0, v[0:1]
	v_not_b32_e32 v0, v1
	v_ashrrev_i32_e32 v0, 31, v0
	v_xor_b32_e32 v1, vcc_hi, v0
	v_xor_b32_e32 v0, vcc_lo, v0
	v_and_b32_e32 v3, v3, v1
	v_and_b32_e32 v8, v8, v0
	;; [unrolled: 9-line block ×7, first 2 shown]
	v_mbcnt_lo_u32_b32 v2, v0, 0
	v_mbcnt_hi_u32_b32 v8, v1, v2
	v_cmp_eq_u32_e32 vcc, 0, v8
	v_cmp_ne_u64_e64 s[36:37], 0, v[0:1]
	s_and_b64 s[42:43], s[36:37], vcc
	; wave barrier
	s_and_saveexec_b64 s[36:37], s[42:43]
	s_cbranch_execz .LBB47_10
; %bb.9:                                ;   in Loop: Header=BB47_6 Depth=2
	v_bcnt_u32_b32 v0, v0, 0
	v_bcnt_u32_b32 v0, v1, v0
	s_waitcnt lgkmcnt(0)
	v_add_u32_e32 v0, v6, v0
	ds_write_b32 v7, v0
.LBB47_10:                              ;   in Loop: Header=BB47_6 Depth=2
	s_or_b64 exec, exec, s[36:37]
	v_bfe_u32 v0, v64, s3, 8
	v_lshlrev_b32_e32 v0, 3, v0
	v_add_lshl_u32 v0, v0, v49, 2
	v_bfe_u32 v18, v64, s3, 1
	; wave barrier
	v_add_u32_e32 v10, 32, v0
	ds_read_b32 v9, v0 offset:32
	v_lshl_add_u64 v[0:1], v[18:19], 0, -1
	v_cmp_ne_u32_e32 vcc, 0, v18
	v_lshrrev_b32_e32 v2, s3, v64
	s_nop 0
	v_xor_b32_e32 v1, vcc_hi, v1
	v_xor_b32_e32 v0, vcc_lo, v0
	v_and_b32_e32 v3, exec_hi, v1
	v_and_b32_e32 v11, exec_lo, v0
	v_lshlrev_b32_e32 v1, 30, v2
	v_mov_b32_e32 v0, v19
	v_cmp_gt_i64_e32 vcc, 0, v[0:1]
	v_not_b32_e32 v0, v1
	v_ashrrev_i32_e32 v0, 31, v0
	v_xor_b32_e32 v1, vcc_hi, v0
	v_xor_b32_e32 v0, vcc_lo, v0
	v_and_b32_e32 v3, v3, v1
	v_and_b32_e32 v11, v11, v0
	v_lshlrev_b32_e32 v1, 29, v2
	v_mov_b32_e32 v0, v19
	v_cmp_gt_i64_e32 vcc, 0, v[0:1]
	v_not_b32_e32 v0, v1
	v_ashrrev_i32_e32 v0, 31, v0
	v_xor_b32_e32 v1, vcc_hi, v0
	v_xor_b32_e32 v0, vcc_lo, v0
	v_and_b32_e32 v3, v3, v1
	v_and_b32_e32 v11, v11, v0
	;; [unrolled: 9-line block ×7, first 2 shown]
	v_mbcnt_lo_u32_b32 v2, v0, 0
	v_mbcnt_hi_u32_b32 v11, v1, v2
	v_cmp_eq_u32_e32 vcc, 0, v11
	v_cmp_ne_u64_e64 s[36:37], 0, v[0:1]
	s_and_b64 s[42:43], s[36:37], vcc
	; wave barrier
	s_and_saveexec_b64 s[36:37], s[42:43]
	s_cbranch_execz .LBB47_12
; %bb.11:                               ;   in Loop: Header=BB47_6 Depth=2
	v_bcnt_u32_b32 v0, v0, 0
	v_bcnt_u32_b32 v0, v1, v0
	s_waitcnt lgkmcnt(0)
	v_add_u32_e32 v0, v9, v0
	ds_write_b32 v10, v0
.LBB47_12:                              ;   in Loop: Header=BB47_6 Depth=2
	s_or_b64 exec, exec, s[36:37]
	v_bfe_u32 v0, v63, s3, 8
	v_lshlrev_b32_e32 v0, 3, v0
	v_add_lshl_u32 v0, v0, v49, 2
	v_bfe_u32 v18, v63, s3, 1
	; wave barrier
	v_add_u32_e32 v13, 32, v0
	ds_read_b32 v12, v0 offset:32
	v_lshl_add_u64 v[0:1], v[18:19], 0, -1
	v_cmp_ne_u32_e32 vcc, 0, v18
	v_lshrrev_b32_e32 v2, s3, v63
	s_nop 0
	v_xor_b32_e32 v1, vcc_hi, v1
	v_xor_b32_e32 v0, vcc_lo, v0
	v_and_b32_e32 v3, exec_hi, v1
	v_and_b32_e32 v14, exec_lo, v0
	v_lshlrev_b32_e32 v1, 30, v2
	v_mov_b32_e32 v0, v19
	v_cmp_gt_i64_e32 vcc, 0, v[0:1]
	v_not_b32_e32 v0, v1
	v_ashrrev_i32_e32 v0, 31, v0
	v_xor_b32_e32 v1, vcc_hi, v0
	v_xor_b32_e32 v0, vcc_lo, v0
	v_and_b32_e32 v3, v3, v1
	v_and_b32_e32 v14, v14, v0
	v_lshlrev_b32_e32 v1, 29, v2
	v_mov_b32_e32 v0, v19
	v_cmp_gt_i64_e32 vcc, 0, v[0:1]
	v_not_b32_e32 v0, v1
	v_ashrrev_i32_e32 v0, 31, v0
	v_xor_b32_e32 v1, vcc_hi, v0
	v_xor_b32_e32 v0, vcc_lo, v0
	v_and_b32_e32 v3, v3, v1
	v_and_b32_e32 v14, v14, v0
	;; [unrolled: 9-line block ×7, first 2 shown]
	v_mbcnt_lo_u32_b32 v2, v0, 0
	v_mbcnt_hi_u32_b32 v14, v1, v2
	v_cmp_eq_u32_e32 vcc, 0, v14
	v_cmp_ne_u64_e64 s[36:37], 0, v[0:1]
	s_and_b64 s[42:43], s[36:37], vcc
	; wave barrier
	s_and_saveexec_b64 s[36:37], s[42:43]
	s_cbranch_execz .LBB47_14
; %bb.13:                               ;   in Loop: Header=BB47_6 Depth=2
	v_bcnt_u32_b32 v0, v0, 0
	v_bcnt_u32_b32 v0, v1, v0
	s_waitcnt lgkmcnt(0)
	v_add_u32_e32 v0, v12, v0
	ds_write_b32 v13, v0
.LBB47_14:                              ;   in Loop: Header=BB47_6 Depth=2
	s_or_b64 exec, exec, s[36:37]
	v_bfe_u32 v0, v62, s3, 8
	v_lshlrev_b32_e32 v0, 3, v0
	v_add_lshl_u32 v0, v0, v49, 2
	v_bfe_u32 v18, v62, s3, 1
	; wave barrier
	v_add_u32_e32 v67, 32, v0
	ds_read_b32 v15, v0 offset:32
	v_lshl_add_u64 v[0:1], v[18:19], 0, -1
	v_cmp_ne_u32_e32 vcc, 0, v18
	v_lshrrev_b32_e32 v2, s3, v62
	s_nop 0
	v_xor_b32_e32 v1, vcc_hi, v1
	v_xor_b32_e32 v0, vcc_lo, v0
	v_and_b32_e32 v3, exec_hi, v1
	v_and_b32_e32 v18, exec_lo, v0
	v_lshlrev_b32_e32 v1, 30, v2
	v_mov_b32_e32 v0, v19
	v_cmp_gt_i64_e32 vcc, 0, v[0:1]
	v_not_b32_e32 v0, v1
	v_ashrrev_i32_e32 v0, 31, v0
	v_xor_b32_e32 v1, vcc_hi, v0
	v_xor_b32_e32 v0, vcc_lo, v0
	v_and_b32_e32 v3, v3, v1
	v_and_b32_e32 v18, v18, v0
	v_lshlrev_b32_e32 v1, 29, v2
	v_mov_b32_e32 v0, v19
	v_cmp_gt_i64_e32 vcc, 0, v[0:1]
	v_not_b32_e32 v0, v1
	v_ashrrev_i32_e32 v0, 31, v0
	v_xor_b32_e32 v1, vcc_hi, v0
	v_xor_b32_e32 v0, vcc_lo, v0
	v_and_b32_e32 v3, v3, v1
	v_and_b32_e32 v18, v18, v0
	;; [unrolled: 9-line block ×7, first 2 shown]
	v_mbcnt_lo_u32_b32 v2, v0, 0
	v_mbcnt_hi_u32_b32 v68, v1, v2
	v_cmp_eq_u32_e32 vcc, 0, v68
	v_cmp_ne_u64_e64 s[36:37], 0, v[0:1]
	s_and_b64 s[42:43], s[36:37], vcc
	; wave barrier
	s_and_saveexec_b64 s[36:37], s[42:43]
	s_cbranch_execz .LBB47_16
; %bb.15:                               ;   in Loop: Header=BB47_6 Depth=2
	v_bcnt_u32_b32 v0, v0, 0
	v_bcnt_u32_b32 v0, v1, v0
	s_waitcnt lgkmcnt(0)
	v_add_u32_e32 v0, v15, v0
	ds_write_b32 v67, v0
.LBB47_16:                              ;   in Loop: Header=BB47_6 Depth=2
	s_or_b64 exec, exec, s[36:37]
	v_bfe_u32 v0, v61, s3, 8
	v_lshlrev_b32_e32 v0, 3, v0
	v_add_lshl_u32 v0, v0, v49, 2
	v_bfe_u32 v18, v61, s3, 1
	; wave barrier
	v_add_u32_e32 v70, 32, v0
	ds_read_b32 v69, v0 offset:32
	v_lshl_add_u64 v[0:1], v[18:19], 0, -1
	v_cmp_ne_u32_e32 vcc, 0, v18
	v_lshrrev_b32_e32 v2, s3, v61
	s_nop 0
	v_xor_b32_e32 v1, vcc_hi, v1
	v_xor_b32_e32 v0, vcc_lo, v0
	v_and_b32_e32 v3, exec_hi, v1
	v_and_b32_e32 v18, exec_lo, v0
	v_lshlrev_b32_e32 v1, 30, v2
	v_mov_b32_e32 v0, v19
	v_cmp_gt_i64_e32 vcc, 0, v[0:1]
	v_not_b32_e32 v0, v1
	v_ashrrev_i32_e32 v0, 31, v0
	v_xor_b32_e32 v1, vcc_hi, v0
	v_xor_b32_e32 v0, vcc_lo, v0
	v_and_b32_e32 v3, v3, v1
	v_and_b32_e32 v18, v18, v0
	v_lshlrev_b32_e32 v1, 29, v2
	v_mov_b32_e32 v0, v19
	v_cmp_gt_i64_e32 vcc, 0, v[0:1]
	v_not_b32_e32 v0, v1
	v_ashrrev_i32_e32 v0, 31, v0
	v_xor_b32_e32 v1, vcc_hi, v0
	v_xor_b32_e32 v0, vcc_lo, v0
	v_and_b32_e32 v3, v3, v1
	v_and_b32_e32 v18, v18, v0
	;; [unrolled: 9-line block ×7, first 2 shown]
	v_mbcnt_lo_u32_b32 v2, v0, 0
	v_mbcnt_hi_u32_b32 v71, v1, v2
	v_cmp_eq_u32_e32 vcc, 0, v71
	v_cmp_ne_u64_e64 s[36:37], 0, v[0:1]
	s_and_b64 s[42:43], s[36:37], vcc
	; wave barrier
	s_and_saveexec_b64 s[36:37], s[42:43]
	s_cbranch_execz .LBB47_18
; %bb.17:                               ;   in Loop: Header=BB47_6 Depth=2
	v_bcnt_u32_b32 v0, v0, 0
	v_bcnt_u32_b32 v0, v1, v0
	s_waitcnt lgkmcnt(0)
	v_add_u32_e32 v0, v69, v0
	ds_write_b32 v70, v0
.LBB47_18:                              ;   in Loop: Header=BB47_6 Depth=2
	s_or_b64 exec, exec, s[36:37]
	v_bfe_u32 v0, v60, s3, 8
	v_lshlrev_b32_e32 v0, 3, v0
	v_add_lshl_u32 v0, v0, v49, 2
	v_bfe_u32 v18, v60, s3, 1
	; wave barrier
	v_add_u32_e32 v73, 32, v0
	ds_read_b32 v72, v0 offset:32
	v_lshl_add_u64 v[0:1], v[18:19], 0, -1
	v_cmp_ne_u32_e32 vcc, 0, v18
	v_lshrrev_b32_e32 v2, s3, v60
	s_nop 0
	v_xor_b32_e32 v1, vcc_hi, v1
	v_xor_b32_e32 v0, vcc_lo, v0
	v_and_b32_e32 v3, exec_hi, v1
	v_and_b32_e32 v18, exec_lo, v0
	v_lshlrev_b32_e32 v1, 30, v2
	v_mov_b32_e32 v0, v19
	v_cmp_gt_i64_e32 vcc, 0, v[0:1]
	v_not_b32_e32 v0, v1
	v_ashrrev_i32_e32 v0, 31, v0
	v_xor_b32_e32 v1, vcc_hi, v0
	v_xor_b32_e32 v0, vcc_lo, v0
	v_and_b32_e32 v3, v3, v1
	v_and_b32_e32 v18, v18, v0
	v_lshlrev_b32_e32 v1, 29, v2
	v_mov_b32_e32 v0, v19
	v_cmp_gt_i64_e32 vcc, 0, v[0:1]
	v_not_b32_e32 v0, v1
	v_ashrrev_i32_e32 v0, 31, v0
	v_xor_b32_e32 v1, vcc_hi, v0
	v_xor_b32_e32 v0, vcc_lo, v0
	v_and_b32_e32 v3, v3, v1
	v_and_b32_e32 v18, v18, v0
	;; [unrolled: 9-line block ×7, first 2 shown]
	v_mbcnt_lo_u32_b32 v2, v0, 0
	v_mbcnt_hi_u32_b32 v74, v1, v2
	v_cmp_eq_u32_e32 vcc, 0, v74
	v_cmp_ne_u64_e64 s[36:37], 0, v[0:1]
	s_and_b64 s[42:43], s[36:37], vcc
	; wave barrier
	s_and_saveexec_b64 s[36:37], s[42:43]
	s_cbranch_execz .LBB47_20
; %bb.19:                               ;   in Loop: Header=BB47_6 Depth=2
	v_bcnt_u32_b32 v0, v0, 0
	v_bcnt_u32_b32 v0, v1, v0
	s_waitcnt lgkmcnt(0)
	v_add_u32_e32 v0, v72, v0
	ds_write_b32 v73, v0
.LBB47_20:                              ;   in Loop: Header=BB47_6 Depth=2
	s_or_b64 exec, exec, s[36:37]
	v_bfe_u32 v0, v59, s3, 8
	v_lshlrev_b32_e32 v0, 3, v0
	v_add_lshl_u32 v0, v0, v49, 2
	v_bfe_u32 v18, v59, s3, 1
	; wave barrier
	v_add_u32_e32 v76, 32, v0
	ds_read_b32 v75, v0 offset:32
	v_lshl_add_u64 v[0:1], v[18:19], 0, -1
	v_cmp_ne_u32_e32 vcc, 0, v18
	v_lshrrev_b32_e32 v2, s3, v59
	s_nop 0
	v_xor_b32_e32 v1, vcc_hi, v1
	v_xor_b32_e32 v0, vcc_lo, v0
	v_and_b32_e32 v3, exec_hi, v1
	v_and_b32_e32 v18, exec_lo, v0
	v_lshlrev_b32_e32 v1, 30, v2
	v_mov_b32_e32 v0, v19
	v_cmp_gt_i64_e32 vcc, 0, v[0:1]
	v_not_b32_e32 v0, v1
	v_ashrrev_i32_e32 v0, 31, v0
	v_xor_b32_e32 v1, vcc_hi, v0
	v_xor_b32_e32 v0, vcc_lo, v0
	v_and_b32_e32 v3, v3, v1
	v_and_b32_e32 v18, v18, v0
	v_lshlrev_b32_e32 v1, 29, v2
	v_mov_b32_e32 v0, v19
	v_cmp_gt_i64_e32 vcc, 0, v[0:1]
	v_not_b32_e32 v0, v1
	v_ashrrev_i32_e32 v0, 31, v0
	v_xor_b32_e32 v1, vcc_hi, v0
	v_xor_b32_e32 v0, vcc_lo, v0
	v_and_b32_e32 v3, v3, v1
	v_and_b32_e32 v18, v18, v0
	;; [unrolled: 9-line block ×7, first 2 shown]
	v_mbcnt_lo_u32_b32 v2, v0, 0
	v_mbcnt_hi_u32_b32 v77, v1, v2
	v_cmp_eq_u32_e32 vcc, 0, v77
	v_cmp_ne_u64_e64 s[36:37], 0, v[0:1]
	s_and_b64 s[42:43], s[36:37], vcc
	; wave barrier
	s_and_saveexec_b64 s[36:37], s[42:43]
	s_cbranch_execz .LBB47_22
; %bb.21:                               ;   in Loop: Header=BB47_6 Depth=2
	v_bcnt_u32_b32 v0, v0, 0
	v_bcnt_u32_b32 v0, v1, v0
	s_waitcnt lgkmcnt(0)
	v_add_u32_e32 v0, v75, v0
	ds_write_b32 v76, v0
.LBB47_22:                              ;   in Loop: Header=BB47_6 Depth=2
	s_or_b64 exec, exec, s[36:37]
	v_bfe_u32 v0, v58, s3, 8
	v_lshlrev_b32_e32 v0, 3, v0
	v_add_lshl_u32 v0, v0, v49, 2
	v_bfe_u32 v18, v58, s3, 1
	; wave barrier
	v_add_u32_e32 v79, 32, v0
	ds_read_b32 v78, v0 offset:32
	v_lshl_add_u64 v[0:1], v[18:19], 0, -1
	v_cmp_ne_u32_e32 vcc, 0, v18
	v_lshrrev_b32_e32 v2, s3, v58
	s_nop 0
	v_xor_b32_e32 v1, vcc_hi, v1
	v_xor_b32_e32 v0, vcc_lo, v0
	v_and_b32_e32 v3, exec_hi, v1
	v_and_b32_e32 v18, exec_lo, v0
	v_lshlrev_b32_e32 v1, 30, v2
	v_mov_b32_e32 v0, v19
	v_cmp_gt_i64_e32 vcc, 0, v[0:1]
	v_not_b32_e32 v0, v1
	v_ashrrev_i32_e32 v0, 31, v0
	v_xor_b32_e32 v1, vcc_hi, v0
	v_xor_b32_e32 v0, vcc_lo, v0
	v_and_b32_e32 v3, v3, v1
	v_and_b32_e32 v18, v18, v0
	v_lshlrev_b32_e32 v1, 29, v2
	v_mov_b32_e32 v0, v19
	v_cmp_gt_i64_e32 vcc, 0, v[0:1]
	v_not_b32_e32 v0, v1
	v_ashrrev_i32_e32 v0, 31, v0
	v_xor_b32_e32 v1, vcc_hi, v0
	v_xor_b32_e32 v0, vcc_lo, v0
	v_and_b32_e32 v3, v3, v1
	v_and_b32_e32 v18, v18, v0
	;; [unrolled: 9-line block ×7, first 2 shown]
	v_mbcnt_lo_u32_b32 v2, v0, 0
	v_mbcnt_hi_u32_b32 v80, v1, v2
	v_cmp_eq_u32_e32 vcc, 0, v80
	v_cmp_ne_u64_e64 s[36:37], 0, v[0:1]
	s_and_b64 s[42:43], s[36:37], vcc
	; wave barrier
	s_and_saveexec_b64 s[36:37], s[42:43]
	s_cbranch_execz .LBB47_24
; %bb.23:                               ;   in Loop: Header=BB47_6 Depth=2
	v_bcnt_u32_b32 v0, v0, 0
	v_bcnt_u32_b32 v0, v1, v0
	s_waitcnt lgkmcnt(0)
	v_add_u32_e32 v0, v78, v0
	ds_write_b32 v79, v0
.LBB47_24:                              ;   in Loop: Header=BB47_6 Depth=2
	s_or_b64 exec, exec, s[36:37]
	v_bfe_u32 v0, v57, s3, 8
	v_lshlrev_b32_e32 v0, 3, v0
	v_add_lshl_u32 v0, v0, v49, 2
	v_bfe_u32 v18, v57, s3, 1
	; wave barrier
	v_add_u32_e32 v82, 32, v0
	ds_read_b32 v81, v0 offset:32
	v_lshl_add_u64 v[0:1], v[18:19], 0, -1
	v_cmp_ne_u32_e32 vcc, 0, v18
	v_lshrrev_b32_e32 v2, s3, v57
	s_nop 0
	v_xor_b32_e32 v1, vcc_hi, v1
	v_xor_b32_e32 v0, vcc_lo, v0
	v_and_b32_e32 v3, exec_hi, v1
	v_and_b32_e32 v18, exec_lo, v0
	v_lshlrev_b32_e32 v1, 30, v2
	v_mov_b32_e32 v0, v19
	v_cmp_gt_i64_e32 vcc, 0, v[0:1]
	v_not_b32_e32 v0, v1
	v_ashrrev_i32_e32 v0, 31, v0
	v_xor_b32_e32 v1, vcc_hi, v0
	v_xor_b32_e32 v0, vcc_lo, v0
	v_and_b32_e32 v3, v3, v1
	v_and_b32_e32 v18, v18, v0
	v_lshlrev_b32_e32 v1, 29, v2
	v_mov_b32_e32 v0, v19
	v_cmp_gt_i64_e32 vcc, 0, v[0:1]
	v_not_b32_e32 v0, v1
	v_ashrrev_i32_e32 v0, 31, v0
	v_xor_b32_e32 v1, vcc_hi, v0
	v_xor_b32_e32 v0, vcc_lo, v0
	v_and_b32_e32 v3, v3, v1
	v_and_b32_e32 v18, v18, v0
	;; [unrolled: 9-line block ×7, first 2 shown]
	v_mbcnt_lo_u32_b32 v2, v0, 0
	v_mbcnt_hi_u32_b32 v83, v1, v2
	v_cmp_eq_u32_e32 vcc, 0, v83
	v_cmp_ne_u64_e64 s[36:37], 0, v[0:1]
	s_and_b64 s[42:43], s[36:37], vcc
	; wave barrier
	s_and_saveexec_b64 s[36:37], s[42:43]
	s_cbranch_execz .LBB47_26
; %bb.25:                               ;   in Loop: Header=BB47_6 Depth=2
	v_bcnt_u32_b32 v0, v0, 0
	v_bcnt_u32_b32 v0, v1, v0
	s_waitcnt lgkmcnt(0)
	v_add_u32_e32 v0, v81, v0
	ds_write_b32 v82, v0
.LBB47_26:                              ;   in Loop: Header=BB47_6 Depth=2
	s_or_b64 exec, exec, s[36:37]
	v_bfe_u32 v0, v56, s3, 8
	v_lshlrev_b32_e32 v0, 3, v0
	v_add_lshl_u32 v0, v0, v49, 2
	v_bfe_u32 v18, v56, s3, 1
	; wave barrier
	v_add_u32_e32 v85, 32, v0
	ds_read_b32 v84, v0 offset:32
	v_lshl_add_u64 v[0:1], v[18:19], 0, -1
	v_cmp_ne_u32_e32 vcc, 0, v18
	v_lshrrev_b32_e32 v2, s3, v56
	s_nop 0
	v_xor_b32_e32 v1, vcc_hi, v1
	v_xor_b32_e32 v0, vcc_lo, v0
	v_and_b32_e32 v3, exec_hi, v1
	v_and_b32_e32 v18, exec_lo, v0
	v_lshlrev_b32_e32 v1, 30, v2
	v_mov_b32_e32 v0, v19
	v_cmp_gt_i64_e32 vcc, 0, v[0:1]
	v_not_b32_e32 v0, v1
	v_ashrrev_i32_e32 v0, 31, v0
	v_xor_b32_e32 v1, vcc_hi, v0
	v_xor_b32_e32 v0, vcc_lo, v0
	v_and_b32_e32 v3, v3, v1
	v_and_b32_e32 v18, v18, v0
	v_lshlrev_b32_e32 v1, 29, v2
	v_mov_b32_e32 v0, v19
	v_cmp_gt_i64_e32 vcc, 0, v[0:1]
	v_not_b32_e32 v0, v1
	v_ashrrev_i32_e32 v0, 31, v0
	v_xor_b32_e32 v1, vcc_hi, v0
	v_xor_b32_e32 v0, vcc_lo, v0
	v_and_b32_e32 v3, v3, v1
	v_and_b32_e32 v18, v18, v0
	;; [unrolled: 9-line block ×7, first 2 shown]
	v_mbcnt_lo_u32_b32 v2, v0, 0
	v_mbcnt_hi_u32_b32 v86, v1, v2
	v_cmp_eq_u32_e32 vcc, 0, v86
	v_cmp_ne_u64_e64 s[36:37], 0, v[0:1]
	s_and_b64 s[42:43], s[36:37], vcc
	; wave barrier
	s_and_saveexec_b64 s[36:37], s[42:43]
	s_cbranch_execz .LBB47_28
; %bb.27:                               ;   in Loop: Header=BB47_6 Depth=2
	v_bcnt_u32_b32 v0, v0, 0
	v_bcnt_u32_b32 v0, v1, v0
	s_waitcnt lgkmcnt(0)
	v_add_u32_e32 v0, v84, v0
	ds_write_b32 v85, v0
.LBB47_28:                              ;   in Loop: Header=BB47_6 Depth=2
	s_or_b64 exec, exec, s[36:37]
	v_bfe_u32 v0, v55, s3, 8
	v_lshlrev_b32_e32 v0, 3, v0
	v_add_lshl_u32 v0, v0, v49, 2
	v_bfe_u32 v18, v55, s3, 1
	; wave barrier
	v_add_u32_e32 v88, 32, v0
	ds_read_b32 v87, v0 offset:32
	v_lshl_add_u64 v[0:1], v[18:19], 0, -1
	v_cmp_ne_u32_e32 vcc, 0, v18
	v_lshrrev_b32_e32 v2, s3, v55
	s_nop 0
	v_xor_b32_e32 v1, vcc_hi, v1
	v_xor_b32_e32 v0, vcc_lo, v0
	v_and_b32_e32 v3, exec_hi, v1
	v_and_b32_e32 v18, exec_lo, v0
	v_lshlrev_b32_e32 v1, 30, v2
	v_mov_b32_e32 v0, v19
	v_cmp_gt_i64_e32 vcc, 0, v[0:1]
	v_not_b32_e32 v0, v1
	v_ashrrev_i32_e32 v0, 31, v0
	v_xor_b32_e32 v1, vcc_hi, v0
	v_xor_b32_e32 v0, vcc_lo, v0
	v_and_b32_e32 v3, v3, v1
	v_and_b32_e32 v18, v18, v0
	v_lshlrev_b32_e32 v1, 29, v2
	v_mov_b32_e32 v0, v19
	v_cmp_gt_i64_e32 vcc, 0, v[0:1]
	v_not_b32_e32 v0, v1
	v_ashrrev_i32_e32 v0, 31, v0
	v_xor_b32_e32 v1, vcc_hi, v0
	v_xor_b32_e32 v0, vcc_lo, v0
	v_and_b32_e32 v3, v3, v1
	v_and_b32_e32 v18, v18, v0
	;; [unrolled: 9-line block ×7, first 2 shown]
	v_mbcnt_lo_u32_b32 v2, v0, 0
	v_mbcnt_hi_u32_b32 v89, v1, v2
	v_cmp_eq_u32_e32 vcc, 0, v89
	v_cmp_ne_u64_e64 s[36:37], 0, v[0:1]
	s_and_b64 s[42:43], s[36:37], vcc
	; wave barrier
	s_and_saveexec_b64 s[36:37], s[42:43]
	s_cbranch_execz .LBB47_30
; %bb.29:                               ;   in Loop: Header=BB47_6 Depth=2
	v_bcnt_u32_b32 v0, v0, 0
	v_bcnt_u32_b32 v0, v1, v0
	s_waitcnt lgkmcnt(0)
	v_add_u32_e32 v0, v87, v0
	ds_write_b32 v88, v0
.LBB47_30:                              ;   in Loop: Header=BB47_6 Depth=2
	s_or_b64 exec, exec, s[36:37]
	v_bfe_u32 v0, v54, s3, 8
	v_lshlrev_b32_e32 v0, 3, v0
	v_add_lshl_u32 v0, v0, v49, 2
	v_bfe_u32 v18, v54, s3, 1
	; wave barrier
	v_add_u32_e32 v91, 32, v0
	ds_read_b32 v90, v0 offset:32
	v_lshl_add_u64 v[0:1], v[18:19], 0, -1
	v_cmp_ne_u32_e32 vcc, 0, v18
	v_lshrrev_b32_e32 v2, s3, v54
	s_nop 0
	v_xor_b32_e32 v1, vcc_hi, v1
	v_xor_b32_e32 v0, vcc_lo, v0
	v_and_b32_e32 v3, exec_hi, v1
	v_and_b32_e32 v18, exec_lo, v0
	v_lshlrev_b32_e32 v1, 30, v2
	v_mov_b32_e32 v0, v19
	v_cmp_gt_i64_e32 vcc, 0, v[0:1]
	v_not_b32_e32 v0, v1
	v_ashrrev_i32_e32 v0, 31, v0
	v_xor_b32_e32 v1, vcc_hi, v0
	v_xor_b32_e32 v0, vcc_lo, v0
	v_and_b32_e32 v3, v3, v1
	v_and_b32_e32 v18, v18, v0
	v_lshlrev_b32_e32 v1, 29, v2
	v_mov_b32_e32 v0, v19
	v_cmp_gt_i64_e32 vcc, 0, v[0:1]
	v_not_b32_e32 v0, v1
	v_ashrrev_i32_e32 v0, 31, v0
	v_xor_b32_e32 v1, vcc_hi, v0
	v_xor_b32_e32 v0, vcc_lo, v0
	v_and_b32_e32 v3, v3, v1
	v_and_b32_e32 v18, v18, v0
	;; [unrolled: 9-line block ×7, first 2 shown]
	v_mbcnt_lo_u32_b32 v2, v0, 0
	v_mbcnt_hi_u32_b32 v92, v1, v2
	v_cmp_eq_u32_e32 vcc, 0, v92
	v_cmp_ne_u64_e64 s[36:37], 0, v[0:1]
	s_and_b64 s[42:43], s[36:37], vcc
	; wave barrier
	s_and_saveexec_b64 s[36:37], s[42:43]
	s_cbranch_execz .LBB47_32
; %bb.31:                               ;   in Loop: Header=BB47_6 Depth=2
	v_bcnt_u32_b32 v0, v0, 0
	v_bcnt_u32_b32 v0, v1, v0
	s_waitcnt lgkmcnt(0)
	v_add_u32_e32 v0, v90, v0
	ds_write_b32 v91, v0
.LBB47_32:                              ;   in Loop: Header=BB47_6 Depth=2
	s_or_b64 exec, exec, s[36:37]
	v_bfe_u32 v0, v53, s3, 8
	v_lshlrev_b32_e32 v0, 3, v0
	v_add_lshl_u32 v0, v0, v49, 2
	v_bfe_u32 v18, v53, s3, 1
	; wave barrier
	v_add_u32_e32 v94, 32, v0
	ds_read_b32 v93, v0 offset:32
	v_lshl_add_u64 v[0:1], v[18:19], 0, -1
	v_cmp_ne_u32_e32 vcc, 0, v18
	v_lshrrev_b32_e32 v2, s3, v53
	s_nop 0
	v_xor_b32_e32 v1, vcc_hi, v1
	v_xor_b32_e32 v0, vcc_lo, v0
	v_and_b32_e32 v3, exec_hi, v1
	v_and_b32_e32 v18, exec_lo, v0
	v_lshlrev_b32_e32 v1, 30, v2
	v_mov_b32_e32 v0, v19
	v_cmp_gt_i64_e32 vcc, 0, v[0:1]
	v_not_b32_e32 v0, v1
	v_ashrrev_i32_e32 v0, 31, v0
	v_xor_b32_e32 v1, vcc_hi, v0
	v_xor_b32_e32 v0, vcc_lo, v0
	v_and_b32_e32 v3, v3, v1
	v_and_b32_e32 v18, v18, v0
	v_lshlrev_b32_e32 v1, 29, v2
	v_mov_b32_e32 v0, v19
	v_cmp_gt_i64_e32 vcc, 0, v[0:1]
	v_not_b32_e32 v0, v1
	v_ashrrev_i32_e32 v0, 31, v0
	v_xor_b32_e32 v1, vcc_hi, v0
	v_xor_b32_e32 v0, vcc_lo, v0
	v_and_b32_e32 v3, v3, v1
	v_and_b32_e32 v18, v18, v0
	;; [unrolled: 9-line block ×7, first 2 shown]
	v_mbcnt_lo_u32_b32 v2, v0, 0
	v_mbcnt_hi_u32_b32 v95, v1, v2
	v_cmp_eq_u32_e32 vcc, 0, v95
	v_cmp_ne_u64_e64 s[36:37], 0, v[0:1]
	s_and_b64 s[42:43], s[36:37], vcc
	; wave barrier
	s_and_saveexec_b64 s[36:37], s[42:43]
	s_cbranch_execz .LBB47_34
; %bb.33:                               ;   in Loop: Header=BB47_6 Depth=2
	v_bcnt_u32_b32 v0, v0, 0
	v_bcnt_u32_b32 v0, v1, v0
	s_waitcnt lgkmcnt(0)
	v_add_u32_e32 v0, v93, v0
	ds_write_b32 v94, v0
.LBB47_34:                              ;   in Loop: Header=BB47_6 Depth=2
	s_or_b64 exec, exec, s[36:37]
	v_bfe_u32 v0, v52, s3, 8
	v_lshlrev_b32_e32 v0, 3, v0
	v_add_lshl_u32 v0, v0, v49, 2
	v_bfe_u32 v18, v52, s3, 1
	; wave barrier
	v_add_u32_e32 v97, 32, v0
	ds_read_b32 v96, v0 offset:32
	v_lshl_add_u64 v[0:1], v[18:19], 0, -1
	v_cmp_ne_u32_e32 vcc, 0, v18
	v_lshrrev_b32_e32 v2, s3, v52
	s_nop 0
	v_xor_b32_e32 v1, vcc_hi, v1
	v_xor_b32_e32 v0, vcc_lo, v0
	v_and_b32_e32 v3, exec_hi, v1
	v_and_b32_e32 v18, exec_lo, v0
	v_lshlrev_b32_e32 v1, 30, v2
	v_mov_b32_e32 v0, v19
	v_cmp_gt_i64_e32 vcc, 0, v[0:1]
	v_not_b32_e32 v0, v1
	v_ashrrev_i32_e32 v0, 31, v0
	v_xor_b32_e32 v1, vcc_hi, v0
	v_xor_b32_e32 v0, vcc_lo, v0
	v_and_b32_e32 v3, v3, v1
	v_and_b32_e32 v18, v18, v0
	v_lshlrev_b32_e32 v1, 29, v2
	v_mov_b32_e32 v0, v19
	v_cmp_gt_i64_e32 vcc, 0, v[0:1]
	v_not_b32_e32 v0, v1
	v_ashrrev_i32_e32 v0, 31, v0
	v_xor_b32_e32 v1, vcc_hi, v0
	v_xor_b32_e32 v0, vcc_lo, v0
	v_and_b32_e32 v3, v3, v1
	v_and_b32_e32 v18, v18, v0
	v_lshlrev_b32_e32 v1, 28, v2
	v_mov_b32_e32 v0, v19
	v_cmp_gt_i64_e32 vcc, 0, v[0:1]
	v_not_b32_e32 v0, v1
	v_ashrrev_i32_e32 v0, 31, v0
	v_xor_b32_e32 v1, vcc_hi, v0
	v_xor_b32_e32 v0, vcc_lo, v0
	v_and_b32_e32 v3, v3, v1
	v_and_b32_e32 v18, v18, v0
	v_lshlrev_b32_e32 v1, 27, v2
	v_mov_b32_e32 v0, v19
	v_cmp_gt_i64_e32 vcc, 0, v[0:1]
	v_not_b32_e32 v0, v1
	v_ashrrev_i32_e32 v0, 31, v0
	v_xor_b32_e32 v1, vcc_hi, v0
	v_xor_b32_e32 v0, vcc_lo, v0
	v_and_b32_e32 v3, v3, v1
	v_and_b32_e32 v18, v18, v0
	v_lshlrev_b32_e32 v1, 26, v2
	v_mov_b32_e32 v0, v19
	v_cmp_gt_i64_e32 vcc, 0, v[0:1]
	v_not_b32_e32 v0, v1
	v_ashrrev_i32_e32 v0, 31, v0
	v_xor_b32_e32 v1, vcc_hi, v0
	v_xor_b32_e32 v0, vcc_lo, v0
	v_and_b32_e32 v3, v3, v1
	v_and_b32_e32 v18, v18, v0
	v_lshlrev_b32_e32 v1, 25, v2
	v_mov_b32_e32 v0, v19
	v_cmp_gt_i64_e32 vcc, 0, v[0:1]
	v_not_b32_e32 v0, v1
	v_ashrrev_i32_e32 v0, 31, v0
	v_xor_b32_e32 v1, vcc_hi, v0
	v_xor_b32_e32 v0, vcc_lo, v0
	v_and_b32_e32 v3, v3, v1
	v_and_b32_e32 v18, v18, v0
	v_lshlrev_b32_e32 v1, 24, v2
	v_mov_b32_e32 v0, v19
	v_cmp_gt_i64_e32 vcc, 0, v[0:1]
	v_not_b32_e32 v0, v1
	v_ashrrev_i32_e32 v0, 31, v0
	v_xor_b32_e32 v1, vcc_hi, v0
	v_xor_b32_e32 v0, vcc_lo, v0
	v_and_b32_e32 v0, v18, v0
	v_and_b32_e32 v1, v3, v1
	v_mbcnt_lo_u32_b32 v2, v0, 0
	v_mbcnt_hi_u32_b32 v98, v1, v2
	v_cmp_eq_u32_e32 vcc, 0, v98
	v_cmp_ne_u64_e64 s[36:37], 0, v[0:1]
	s_and_b64 s[42:43], s[36:37], vcc
	; wave barrier
	s_and_saveexec_b64 s[36:37], s[42:43]
	s_cbranch_execz .LBB47_36
; %bb.35:                               ;   in Loop: Header=BB47_6 Depth=2
	v_bcnt_u32_b32 v0, v0, 0
	v_bcnt_u32_b32 v0, v1, v0
	s_waitcnt lgkmcnt(0)
	v_add_u32_e32 v0, v96, v0
	ds_write_b32 v97, v0
.LBB47_36:                              ;   in Loop: Header=BB47_6 Depth=2
	s_or_b64 exec, exec, s[36:37]
	v_bfe_u32 v0, v51, s3, 8
	v_lshlrev_b32_e32 v0, 3, v0
	v_add_lshl_u32 v0, v0, v49, 2
	v_bfe_u32 v18, v51, s3, 1
	; wave barrier
	v_add_u32_e32 v100, 32, v0
	ds_read_b32 v99, v0 offset:32
	v_lshl_add_u64 v[0:1], v[18:19], 0, -1
	v_cmp_ne_u32_e32 vcc, 0, v18
	v_lshrrev_b32_e32 v2, s3, v51
	s_nop 0
	v_xor_b32_e32 v1, vcc_hi, v1
	v_xor_b32_e32 v0, vcc_lo, v0
	v_and_b32_e32 v3, exec_hi, v1
	v_and_b32_e32 v18, exec_lo, v0
	v_lshlrev_b32_e32 v1, 30, v2
	v_mov_b32_e32 v0, v19
	v_cmp_gt_i64_e32 vcc, 0, v[0:1]
	v_not_b32_e32 v0, v1
	v_ashrrev_i32_e32 v0, 31, v0
	v_xor_b32_e32 v1, vcc_hi, v0
	v_xor_b32_e32 v0, vcc_lo, v0
	v_and_b32_e32 v3, v3, v1
	v_and_b32_e32 v18, v18, v0
	v_lshlrev_b32_e32 v1, 29, v2
	v_mov_b32_e32 v0, v19
	v_cmp_gt_i64_e32 vcc, 0, v[0:1]
	v_not_b32_e32 v0, v1
	v_ashrrev_i32_e32 v0, 31, v0
	v_xor_b32_e32 v1, vcc_hi, v0
	v_xor_b32_e32 v0, vcc_lo, v0
	v_and_b32_e32 v3, v3, v1
	v_and_b32_e32 v18, v18, v0
	;; [unrolled: 9-line block ×7, first 2 shown]
	v_mbcnt_lo_u32_b32 v2, v0, 0
	v_mbcnt_hi_u32_b32 v103, v1, v2
	v_cmp_eq_u32_e32 vcc, 0, v103
	v_cmp_ne_u64_e64 s[36:37], 0, v[0:1]
	s_and_b64 s[42:43], s[36:37], vcc
	; wave barrier
	s_and_saveexec_b64 s[36:37], s[42:43]
	s_cbranch_execz .LBB47_38
; %bb.37:                               ;   in Loop: Header=BB47_6 Depth=2
	v_bcnt_u32_b32 v0, v0, 0
	v_bcnt_u32_b32 v0, v1, v0
	s_waitcnt lgkmcnt(0)
	v_add_u32_e32 v0, v99, v0
	ds_write_b32 v100, v0
.LBB47_38:                              ;   in Loop: Header=BB47_6 Depth=2
	s_or_b64 exec, exec, s[36:37]
	; wave barrier
	s_waitcnt lgkmcnt(0)
	s_barrier
	ds_read2_b64 v[0:3], v17 offset0:4 offset1:5
	s_waitcnt lgkmcnt(0)
	v_add_u32_e32 v18, v1, v0
	v_add3_u32 v3, v18, v2, v3
	s_nop 1
	v_mov_b32_dpp v18, v3 row_shr:1 row_mask:0xf bank_mask:0xf
	v_cndmask_b32_e64 v18, v18, 0, s[14:15]
	v_add_u32_e32 v3, v18, v3
	s_nop 1
	v_mov_b32_dpp v18, v3 row_shr:2 row_mask:0xf bank_mask:0xf
	v_cndmask_b32_e64 v18, 0, v18, s[16:17]
	v_add_u32_e32 v3, v3, v18
	;; [unrolled: 4-line block ×4, first 2 shown]
	s_nop 1
	v_mov_b32_dpp v18, v3 row_bcast:15 row_mask:0xf bank_mask:0xf
	v_cndmask_b32_e64 v18, v18, 0, s[22:23]
	v_add_u32_e32 v3, v3, v18
	s_nop 1
	v_mov_b32_dpp v18, v3 row_bcast:31 row_mask:0xf bank_mask:0xf
	v_cndmask_b32_e64 v18, 0, v18, s[34:35]
	v_add_u32_e32 v3, v3, v18
	s_and_saveexec_b64 s[36:37], s[30:31]
	s_cbranch_execz .LBB47_40
; %bb.39:                               ;   in Loop: Header=BB47_6 Depth=2
	ds_write_b32 v26, v3
.LBB47_40:                              ;   in Loop: Header=BB47_6 Depth=2
	s_or_b64 exec, exec, s[36:37]
	s_waitcnt lgkmcnt(0)
	s_barrier
	s_and_saveexec_b64 s[36:37], s[4:5]
	s_cbranch_execz .LBB47_42
; %bb.41:                               ;   in Loop: Header=BB47_6 Depth=2
	ds_read_b32 v18, v27
	s_waitcnt lgkmcnt(0)
	s_nop 0
	v_mov_b32_dpp v101, v18 row_shr:1 row_mask:0xf bank_mask:0xf
	v_cndmask_b32_e64 v101, v101, 0, s[24:25]
	v_add_u32_e32 v18, v101, v18
	s_nop 1
	v_mov_b32_dpp v101, v18 row_shr:2 row_mask:0xf bank_mask:0xf
	v_cndmask_b32_e64 v101, 0, v101, s[26:27]
	v_add_u32_e32 v18, v18, v101
	;; [unrolled: 4-line block ×3, first 2 shown]
	ds_write_b32 v27, v18
.LBB47_42:                              ;   in Loop: Header=BB47_6 Depth=2
	s_or_b64 exec, exec, s[36:37]
	v_mov_b32_e32 v18, 0
	s_waitcnt lgkmcnt(0)
	s_barrier
	s_and_saveexec_b64 s[36:37], s[6:7]
	s_cbranch_execz .LBB47_44
; %bb.43:                               ;   in Loop: Header=BB47_6 Depth=2
	ds_read_b32 v18, v45
.LBB47_44:                              ;   in Loop: Header=BB47_6 Depth=2
	s_or_b64 exec, exec, s[36:37]
	s_waitcnt lgkmcnt(0)
	v_add_u32_e32 v3, v18, v3
	ds_bpermute_b32 v3, v44, v3
	s_cmp_gt_u32 s3, 23
	s_waitcnt lgkmcnt(0)
	v_cndmask_b32_e64 v3, v3, v18, s[8:9]
	v_cndmask_b32_e64 v104, v3, 0, s[10:11]
	v_add_u32_e32 v105, v104, v0
	v_add_u32_e32 v0, v105, v1
	;; [unrolled: 1-line block ×3, first 2 shown]
	ds_write2_b64 v17, v[104:105], v[0:1] offset0:4 offset1:5
	s_waitcnt lgkmcnt(0)
	s_barrier
	ds_read_b32 v0, v4
	ds_read_b32 v1, v7
	;; [unrolled: 1-line block ×8, first 2 shown]
	s_waitcnt lgkmcnt(7)
	v_add_u32_e32 v102, v0, v5
	s_waitcnt lgkmcnt(6)
	v_add3_u32 v101, v8, v6, v1
	s_waitcnt lgkmcnt(5)
	v_add3_u32 v76, v11, v9, v2
	;; [unrolled: 2-line block ×5, first 2 shown]
	ds_read_b32 v0, v79
	ds_read_b32 v1, v82
	;; [unrolled: 1-line block ×8, first 2 shown]
	s_waitcnt lgkmcnt(9)
	v_add3_u32 v67, v74, v72, v10
	s_waitcnt lgkmcnt(8)
	v_add3_u32 v18, v77, v75, v13
	;; [unrolled: 2-line block ×10, first 2 shown]
	s_cbranch_scc0 .LBB47_5
; %bb.45:                               ;   in Loop: Header=BB47_2 Depth=1
                                        ; implicit-def: $sgpr3
                                        ; implicit-def: $vgpr0
                                        ; implicit-def: $vgpr2
                                        ; implicit-def: $vgpr4
                                        ; implicit-def: $vgpr6
                                        ; implicit-def: $vgpr8
                                        ; implicit-def: $vgpr10
                                        ; implicit-def: $vgpr12
                                        ; implicit-def: $vgpr14
.LBB47_46:                              ;   in Loop: Header=BB47_2 Depth=1
	v_lshlrev_b32_e32 v0, 2, v102
	s_barrier
	ds_write_b32 v0, v66
	v_lshlrev_b32_e32 v0, 2, v101
	ds_write_b32 v0, v65
	v_lshlrev_b32_e32 v0, 2, v76
	;; [unrolled: 2-line block ×15, first 2 shown]
	ds_write_b32 v0, v51
	s_waitcnt lgkmcnt(0)
	s_barrier
	ds_read2_b64 v[0:3], v46 offset1:1
	ds_read2_b64 v[4:7], v46 offset0:2 offset1:3
	ds_read2_b64 v[8:11], v46 offset0:4 offset1:5
	;; [unrolled: 1-line block ×3, first 2 shown]
	s_waitcnt lgkmcnt(0)
	s_barrier
	s_and_saveexec_b64 s[36:37], s[0:1]
	s_cbranch_execz .LBB47_48
; %bb.47:                               ;   in Loop: Header=BB47_2 Depth=1
	ds_write2st64_b32 v47, v50, v50 offset0:16 offset1:24
.LBB47_48:                              ;   in Loop: Header=BB47_2 Depth=1
	s_or_b64 exec, exec, s[36:37]
	v_xor_b32_e32 v51, 0x80000000, v14
	v_xor_b32_e32 v18, 0x80000000, v15
	v_cmp_ne_u32_e32 vcc, v14, v15
	v_lshlrev_b32_e32 v51, 2, v51
	s_waitcnt lgkmcnt(0)
	s_barrier
	ds_write_b32 v27, v18
	s_and_saveexec_b64 s[36:37], vcc
	s_cbranch_execz .LBB47_50
; %bb.49:                               ;   in Loop: Header=BB47_2 Depth=1
	v_lshlrev_b32_e32 v18, 2, v18
	ds_write_b32 v18, v42 offset:4096
	ds_write_b32 v51, v42 offset:6144
.LBB47_50:                              ;   in Loop: Header=BB47_2 Depth=1
	s_or_b64 exec, exec, s[36:37]
	v_xor_b32_e32 v18, 0x80000000, v13
	v_cmp_ne_u32_e32 vcc, v13, v14
	v_lshlrev_b32_e32 v18, 2, v18
	s_and_saveexec_b64 s[36:37], vcc
	s_cbranch_execz .LBB47_52
; %bb.51:                               ;   in Loop: Header=BB47_2 Depth=1
	ds_write_b32 v51, v41 offset:4096
	ds_write_b32 v18, v41 offset:6144
.LBB47_52:                              ;   in Loop: Header=BB47_2 Depth=1
	s_or_b64 exec, exec, s[36:37]
	v_xor_b32_e32 v51, 0x80000000, v12
	v_cmp_ne_u32_e32 vcc, v12, v13
	v_lshlrev_b32_e32 v51, 2, v51
	s_and_saveexec_b64 s[36:37], vcc
	s_cbranch_execz .LBB47_54
; %bb.53:                               ;   in Loop: Header=BB47_2 Depth=1
	ds_write_b32 v18, v40 offset:4096
	ds_write_b32 v51, v40 offset:6144
.LBB47_54:                              ;   in Loop: Header=BB47_2 Depth=1
	s_or_b64 exec, exec, s[36:37]
	v_xor_b32_e32 v18, 0x80000000, v11
	v_cmp_ne_u32_e32 vcc, v11, v12
	v_lshlrev_b32_e32 v18, 2, v18
	s_and_saveexec_b64 s[36:37], vcc
	s_cbranch_execz .LBB47_56
; %bb.55:                               ;   in Loop: Header=BB47_2 Depth=1
	ds_write_b32 v51, v39 offset:4096
	ds_write_b32 v18, v39 offset:6144
.LBB47_56:                              ;   in Loop: Header=BB47_2 Depth=1
	s_or_b64 exec, exec, s[36:37]
	v_xor_b32_e32 v51, 0x80000000, v10
	v_cmp_ne_u32_e32 vcc, v10, v11
	v_lshlrev_b32_e32 v51, 2, v51
	s_and_saveexec_b64 s[36:37], vcc
	s_cbranch_execz .LBB47_58
; %bb.57:                               ;   in Loop: Header=BB47_2 Depth=1
	ds_write_b32 v18, v38 offset:4096
	ds_write_b32 v51, v38 offset:6144
.LBB47_58:                              ;   in Loop: Header=BB47_2 Depth=1
	s_or_b64 exec, exec, s[36:37]
	v_xor_b32_e32 v18, 0x80000000, v9
	v_cmp_ne_u32_e32 vcc, v9, v10
	v_lshlrev_b32_e32 v18, 2, v18
	s_and_saveexec_b64 s[36:37], vcc
	s_cbranch_execz .LBB47_60
; %bb.59:                               ;   in Loop: Header=BB47_2 Depth=1
	ds_write_b32 v51, v37 offset:4096
	ds_write_b32 v18, v37 offset:6144
.LBB47_60:                              ;   in Loop: Header=BB47_2 Depth=1
	s_or_b64 exec, exec, s[36:37]
	v_xor_b32_e32 v51, 0x80000000, v8
	v_cmp_ne_u32_e32 vcc, v8, v9
	v_lshlrev_b32_e32 v51, 2, v51
	s_and_saveexec_b64 s[36:37], vcc
	s_cbranch_execz .LBB47_62
; %bb.61:                               ;   in Loop: Header=BB47_2 Depth=1
	ds_write_b32 v18, v36 offset:4096
	ds_write_b32 v51, v36 offset:6144
.LBB47_62:                              ;   in Loop: Header=BB47_2 Depth=1
	s_or_b64 exec, exec, s[36:37]
	v_xor_b32_e32 v18, 0x80000000, v7
	v_cmp_ne_u32_e32 vcc, v7, v8
	v_lshlrev_b32_e32 v18, 2, v18
	s_and_saveexec_b64 s[36:37], vcc
	s_cbranch_execz .LBB47_64
; %bb.63:                               ;   in Loop: Header=BB47_2 Depth=1
	ds_write_b32 v51, v35 offset:4096
	ds_write_b32 v18, v35 offset:6144
.LBB47_64:                              ;   in Loop: Header=BB47_2 Depth=1
	s_or_b64 exec, exec, s[36:37]
	v_xor_b32_e32 v51, 0x80000000, v6
	v_cmp_ne_u32_e32 vcc, v6, v7
	v_lshlrev_b32_e32 v51, 2, v51
	s_and_saveexec_b64 s[36:37], vcc
	s_cbranch_execz .LBB47_66
; %bb.65:                               ;   in Loop: Header=BB47_2 Depth=1
	ds_write_b32 v18, v34 offset:4096
	ds_write_b32 v51, v34 offset:6144
.LBB47_66:                              ;   in Loop: Header=BB47_2 Depth=1
	s_or_b64 exec, exec, s[36:37]
	v_xor_b32_e32 v18, 0x80000000, v5
	v_cmp_ne_u32_e32 vcc, v5, v6
	v_lshlrev_b32_e32 v18, 2, v18
	s_and_saveexec_b64 s[36:37], vcc
	s_cbranch_execz .LBB47_68
; %bb.67:                               ;   in Loop: Header=BB47_2 Depth=1
	ds_write_b32 v51, v33 offset:4096
	ds_write_b32 v18, v33 offset:6144
.LBB47_68:                              ;   in Loop: Header=BB47_2 Depth=1
	s_or_b64 exec, exec, s[36:37]
	v_xor_b32_e32 v51, 0x80000000, v4
	v_cmp_ne_u32_e32 vcc, v4, v5
	v_lshlrev_b32_e32 v51, 2, v51
	s_and_saveexec_b64 s[36:37], vcc
	s_cbranch_execz .LBB47_70
; %bb.69:                               ;   in Loop: Header=BB47_2 Depth=1
	ds_write_b32 v18, v32 offset:4096
	ds_write_b32 v51, v32 offset:6144
.LBB47_70:                              ;   in Loop: Header=BB47_2 Depth=1
	s_or_b64 exec, exec, s[36:37]
	v_xor_b32_e32 v18, 0x80000000, v3
	v_cmp_ne_u32_e32 vcc, v3, v4
	v_lshlrev_b32_e32 v18, 2, v18
	s_and_saveexec_b64 s[36:37], vcc
	s_cbranch_execz .LBB47_72
; %bb.71:                               ;   in Loop: Header=BB47_2 Depth=1
	ds_write_b32 v51, v31 offset:4096
	ds_write_b32 v18, v31 offset:6144
.LBB47_72:                              ;   in Loop: Header=BB47_2 Depth=1
	s_or_b64 exec, exec, s[36:37]
	v_xor_b32_e32 v51, 0x80000000, v2
	v_cmp_ne_u32_e32 vcc, v2, v3
	v_lshlrev_b32_e32 v51, 2, v51
	s_and_saveexec_b64 s[36:37], vcc
	s_cbranch_execz .LBB47_74
; %bb.73:                               ;   in Loop: Header=BB47_2 Depth=1
	ds_write_b32 v18, v30 offset:4096
	ds_write_b32 v51, v30 offset:6144
.LBB47_74:                              ;   in Loop: Header=BB47_2 Depth=1
	s_or_b64 exec, exec, s[36:37]
	v_xor_b32_e32 v18, 0x80000000, v1
	v_cmp_ne_u32_e32 vcc, v1, v2
	v_lshlrev_b32_e32 v52, 2, v18
	s_and_saveexec_b64 s[36:37], vcc
	s_cbranch_execz .LBB47_76
; %bb.75:                               ;   in Loop: Header=BB47_2 Depth=1
	ds_write_b32 v51, v29 offset:4096
	ds_write_b32 v52, v29 offset:6144
.LBB47_76:                              ;   in Loop: Header=BB47_2 Depth=1
	s_or_b64 exec, exec, s[36:37]
	v_xor_b32_e32 v51, 0x80000000, v0
	v_cmp_ne_u32_e32 vcc, v0, v1
	v_lshlrev_b32_e32 v18, 2, v51
	s_and_saveexec_b64 s[36:37], vcc
	s_cbranch_execz .LBB47_78
; %bb.77:                               ;   in Loop: Header=BB47_2 Depth=1
	ds_write_b32 v52, v28 offset:4096
	ds_write_b32 v18, v28 offset:6144
.LBB47_78:                              ;   in Loop: Header=BB47_2 Depth=1
	s_or_b64 exec, exec, s[36:37]
	s_waitcnt lgkmcnt(0)
	s_barrier
	s_and_saveexec_b64 s[36:37], s[12:13]
	s_cbranch_execz .LBB47_81
; %bb.79:                               ;   in Loop: Header=BB47_2 Depth=1
	ds_read_b32 v52, v48
	s_waitcnt lgkmcnt(0)
	v_cmp_ne_u32_e32 vcc, v52, v51
	s_and_b64 exec, exec, vcc
	s_cbranch_execz .LBB47_81
; %bb.80:                               ;   in Loop: Header=BB47_2 Depth=1
	ds_write_b32 v18, v17 offset:4096
	ds_read_b32 v51, v48
	s_waitcnt lgkmcnt(0)
	v_lshlrev_b32_e32 v51, 2, v51
	ds_write_b32 v51, v17 offset:6144
.LBB47_81:                              ;   in Loop: Header=BB47_2 Depth=1
	s_or_b64 exec, exec, s[36:37]
	s_waitcnt lgkmcnt(0)
	s_barrier
	s_and_saveexec_b64 s[36:37], s[10:11]
	s_cbranch_execz .LBB47_83
; %bb.82:                               ;   in Loop: Header=BB47_2 Depth=1
	ds_write_b32 v18, v19 offset:4096
.LBB47_83:                              ;   in Loop: Header=BB47_2 Depth=1
	s_or_b64 exec, exec, s[36:37]
	s_waitcnt lgkmcnt(0)
	s_barrier
	s_and_saveexec_b64 s[36:37], s[0:1]
	s_cbranch_execz .LBB47_1
; %bb.84:                               ;   in Loop: Header=BB47_2 Depth=1
	ds_read2st64_b32 v[52:53], v47 offset0:16 offset1:24
	ds_read_b32 v18, v24
	s_waitcnt lgkmcnt(1)
	v_sub_u32_e32 v51, v53, v52
	s_waitcnt lgkmcnt(0)
	v_add_u32_e32 v18, v51, v18
	ds_write_b32 v24, v18
	s_branch .LBB47_1
.LBB47_85:
	s_and_saveexec_b64 s[4:5], s[0:1]
	s_cbranch_execz .LBB47_87
; %bb.86:
	ds_read_b32 v4, v24
	v_mov_b32_e32 v0, s38
	v_mov_b32_e32 v1, s39
	v_lshl_or_b32 v2, s2, 9, v16
	v_mov_b32_e32 v3, 0
	v_lshl_add_u64 v[0:1], v[2:3], 2, v[0:1]
	s_waitcnt lgkmcnt(0)
	global_store_dword v[0:1], v4, off
.LBB47_87:
	s_endpgm
	.section	.rodata,"a",@progbits
	.p2align	6, 0x0
	.amdhsa_kernel _Z6kernelI9histogramILN6hipcub23BlockHistogramAlgorithmE1EEiLj512ELj16ELj512ELj100EEvPKT0_PS4_
		.amdhsa_group_segment_fixed_size 34816
		.amdhsa_private_segment_fixed_size 0
		.amdhsa_kernarg_size 272
		.amdhsa_user_sgpr_count 2
		.amdhsa_user_sgpr_dispatch_ptr 0
		.amdhsa_user_sgpr_queue_ptr 0
		.amdhsa_user_sgpr_kernarg_segment_ptr 1
		.amdhsa_user_sgpr_dispatch_id 0
		.amdhsa_user_sgpr_kernarg_preload_length 0
		.amdhsa_user_sgpr_kernarg_preload_offset 0
		.amdhsa_user_sgpr_private_segment_size 0
		.amdhsa_uses_dynamic_stack 0
		.amdhsa_enable_private_segment 0
		.amdhsa_system_sgpr_workgroup_id_x 1
		.amdhsa_system_sgpr_workgroup_id_y 0
		.amdhsa_system_sgpr_workgroup_id_z 0
		.amdhsa_system_sgpr_workgroup_info 0
		.amdhsa_system_vgpr_workitem_id 2
		.amdhsa_next_free_vgpr 106
		.amdhsa_next_free_sgpr 44
		.amdhsa_accum_offset 108
		.amdhsa_reserve_vcc 1
		.amdhsa_float_round_mode_32 0
		.amdhsa_float_round_mode_16_64 0
		.amdhsa_float_denorm_mode_32 3
		.amdhsa_float_denorm_mode_16_64 3
		.amdhsa_dx10_clamp 1
		.amdhsa_ieee_mode 1
		.amdhsa_fp16_overflow 0
		.amdhsa_tg_split 0
		.amdhsa_exception_fp_ieee_invalid_op 0
		.amdhsa_exception_fp_denorm_src 0
		.amdhsa_exception_fp_ieee_div_zero 0
		.amdhsa_exception_fp_ieee_overflow 0
		.amdhsa_exception_fp_ieee_underflow 0
		.amdhsa_exception_fp_ieee_inexact 0
		.amdhsa_exception_int_div_zero 0
	.end_amdhsa_kernel
	.section	.text._Z6kernelI9histogramILN6hipcub23BlockHistogramAlgorithmE1EEiLj512ELj16ELj512ELj100EEvPKT0_PS4_,"axG",@progbits,_Z6kernelI9histogramILN6hipcub23BlockHistogramAlgorithmE1EEiLj512ELj16ELj512ELj100EEvPKT0_PS4_,comdat
.Lfunc_end47:
	.size	_Z6kernelI9histogramILN6hipcub23BlockHistogramAlgorithmE1EEiLj512ELj16ELj512ELj100EEvPKT0_PS4_, .Lfunc_end47-_Z6kernelI9histogramILN6hipcub23BlockHistogramAlgorithmE1EEiLj512ELj16ELj512ELj100EEvPKT0_PS4_
                                        ; -- End function
	.section	.AMDGPU.csdata,"",@progbits
; Kernel info:
; codeLenInByte = 9536
; NumSgprs: 50
; NumVgprs: 106
; NumAgprs: 0
; TotalNumVgprs: 106
; ScratchSize: 0
; MemoryBound: 0
; FloatMode: 240
; IeeeMode: 1
; LDSByteSize: 34816 bytes/workgroup (compile time only)
; SGPRBlocks: 6
; VGPRBlocks: 13
; NumSGPRsForWavesPerEU: 50
; NumVGPRsForWavesPerEU: 106
; AccumOffset: 108
; Occupancy: 2
; WaveLimiterHint : 0
; COMPUTE_PGM_RSRC2:SCRATCH_EN: 0
; COMPUTE_PGM_RSRC2:USER_SGPR: 2
; COMPUTE_PGM_RSRC2:TRAP_HANDLER: 0
; COMPUTE_PGM_RSRC2:TGID_X_EN: 1
; COMPUTE_PGM_RSRC2:TGID_Y_EN: 0
; COMPUTE_PGM_RSRC2:TGID_Z_EN: 0
; COMPUTE_PGM_RSRC2:TIDIG_COMP_CNT: 2
; COMPUTE_PGM_RSRC3_GFX90A:ACCUM_OFFSET: 26
; COMPUTE_PGM_RSRC3_GFX90A:TG_SPLIT: 0
	.section	.text._Z6kernelI9histogramILN6hipcub23BlockHistogramAlgorithmE1EEyLj256ELj1ELj256ELj100EEvPKT0_PS4_,"axG",@progbits,_Z6kernelI9histogramILN6hipcub23BlockHistogramAlgorithmE1EEyLj256ELj1ELj256ELj100EEvPKT0_PS4_,comdat
	.protected	_Z6kernelI9histogramILN6hipcub23BlockHistogramAlgorithmE1EEyLj256ELj1ELj256ELj100EEvPKT0_PS4_ ; -- Begin function _Z6kernelI9histogramILN6hipcub23BlockHistogramAlgorithmE1EEyLj256ELj1ELj256ELj100EEvPKT0_PS4_
	.globl	_Z6kernelI9histogramILN6hipcub23BlockHistogramAlgorithmE1EEyLj256ELj1ELj256ELj100EEvPKT0_PS4_
	.p2align	8
	.type	_Z6kernelI9histogramILN6hipcub23BlockHistogramAlgorithmE1EEyLj256ELj1ELj256ELj100EEvPKT0_PS4_,@function
_Z6kernelI9histogramILN6hipcub23BlockHistogramAlgorithmE1EEyLj256ELj1ELj256ELj100EEvPKT0_PS4_: ; @_Z6kernelI9histogramILN6hipcub23BlockHistogramAlgorithmE1EEyLj256ELj1ELj256ELj100EEvPKT0_PS4_
; %bb.0:
	s_load_dwordx4 s[36:39], s[0:1], 0x0
	s_load_dword s3, s[0:1], 0x1c
	s_lshl_b32 s0, s2, 8
	v_and_b32_e32 v6, 0x3ff, v0
	v_mov_b32_e32 v9, 0
	s_waitcnt lgkmcnt(0)
	v_mov_b32_e32 v2, s36
	v_mov_b32_e32 v3, s37
	v_or_b32_e32 v4, s0, v6
	v_mov_b32_e32 v5, v9
	v_lshl_add_u64 v[2:3], v[4:5], 3, v[2:3]
	global_load_dwordx2 v[2:3], v[2:3], off
	s_lshr_b32 s2, s3, 16
	v_bfe_u32 v1, v0, 10, 10
	v_bfe_u32 v0, v0, 20, 10
	s_and_b32 s3, s3, 0xffff
	v_mad_u32_u24 v0, v0, s2, v1
	v_mad_u64_u32 v[0:1], s[2:3], v0, s3, v[6:7]
	v_lshrrev_b32_e32 v7, 6, v0
	v_mbcnt_lo_u32_b32 v0, -1, 0
	v_mbcnt_hi_u32_b32 v0, -1, v0
	v_and_b32_e32 v8, 15, v0
	v_cmp_eq_u32_e64 s[2:3], 0, v8
	v_cmp_lt_u32_e64 s[4:5], 1, v8
	v_cmp_lt_u32_e64 s[6:7], 3, v8
	;; [unrolled: 1-line block ×3, first 2 shown]
	v_and_b32_e32 v8, 16, v0
	v_cmp_eq_u32_e64 s[10:11], 0, v8
	v_and_b32_e32 v8, 0xc0, v6
	v_or_b32_e32 v10, 63, v8
	v_cmp_eq_u32_e64 s[14:15], v10, v6
	v_add_u32_e32 v10, -1, v0
	v_and_b32_e32 v11, 64, v0
	v_cmp_lt_i32_e32 vcc, v10, v11
	v_lshlrev_b32_e32 v5, 4, v6
	v_lshlrev_b32_e32 v1, 2, v6
	v_cndmask_b32_e32 v10, v10, v0, vcc
	v_lshlrev_b32_e32 v17, 2, v10
	v_lshrrev_b32_e32 v10, 4, v6
	s_mov_b32 s34, 0
	v_cmp_lt_u32_e64 s[12:13], 31, v0
	v_cmp_eq_u32_e64 s[20:21], 0, v0
	v_and_b32_e32 v18, 12, v10
	v_mad_i32_i24 v19, v6, -12, v5
	v_and_b32_e32 v10, 3, v0
	v_add_lshl_u32 v21, v0, v8, 3
	v_mov_b32_e32 v0, 0x1800
	s_movk_i32 s0, 0x100
	v_add_u32_e32 v22, v19, v1
	v_lshl_add_u32 v16, v6, 3, v0
	v_sub_u32_e32 v0, 0, v1
	s_mov_b32 s35, s34
	s_mov_b32 s30, s34
	;; [unrolled: 1-line block ×3, first 2 shown]
	v_cmp_gt_u32_e64 s[0:1], s0, v6
	v_cmp_gt_u32_e64 s[16:17], 4, v6
	v_cmp_lt_u32_e64 s[18:19], 63, v6
	v_cmp_eq_u32_e64 s[22:23], 0, v6
	v_cmp_ne_u32_e64 s[24:25], 0, v6
	v_cmp_eq_u32_e64 s[26:27], 0, v10
	v_cmp_lt_u32_e64 s[28:29], 1, v10
	v_add_u32_e32 v20, -4, v18
	v_add_u32_e32 v23, -8, v22
	v_mov_b64_e32 v[10:11], s[34:35]
	v_mov_b64_e32 v[12:13], s[30:31]
	v_mov_b32_e32 v24, 0x100
	v_add_u32_e32 v25, v22, v0
	s_branch .LBB48_2
.LBB48_1:                               ;   in Loop: Header=BB48_2 Depth=1
	s_or_b64 exec, exec, s[30:31]
	s_add_i32 s34, s34, 1
	s_cmpk_eq_i32 s34, 0x64
	s_cbranch_scc1 .LBB48_25
.LBB48_2:                               ; =>This Loop Header: Depth=1
                                        ;     Child Loop BB48_6 Depth 2
	s_and_saveexec_b64 s[30:31], s[0:1]
	s_cbranch_execz .LBB48_4
; %bb.3:                                ;   in Loop: Header=BB48_2 Depth=1
	v_mov_b32_e32 v8, v9
	ds_write_b64 v16, v[8:9]
.LBB48_4:                               ;   in Loop: Header=BB48_2 Depth=1
	s_or_b64 exec, exec, s[30:31]
	s_mov_b64 s[36:37], 0
	s_waitcnt lgkmcnt(0)
	s_barrier
	s_branch .LBB48_6
.LBB48_5:                               ;   in Loop: Header=BB48_6 Depth=2
	v_lshlrev_b32_e32 v1, 3, v0
	s_barrier
	ds_write_b64 v1, v[14:15]
	s_waitcnt lgkmcnt(0)
	s_barrier
	ds_read_b64 v[2:3], v21
	s_add_u32 s36, s36, 8
	s_addc_u32 s37, s37, 0
	s_waitcnt lgkmcnt(0)
	s_barrier
	s_cbranch_execz .LBB48_16
.LBB48_6:                               ;   Parent Loop BB48_2 Depth=1
                                        ; =>  This Inner Loop Header: Depth=2
	s_waitcnt vmcnt(0)
	v_mov_b64_e32 v[14:15], v[2:3]
	v_lshrrev_b64 v[0:1], s36, v[14:15]
	v_lshlrev_b32_e32 v1, 2, v0
	v_and_b32_e32 v8, 1, v0
	v_and_b32_e32 v1, 0x3fc, v1
	v_lshl_add_u64 v[2:3], v[8:9], 0, -1
	v_cmp_ne_u32_e32 vcc, 0, v8
	v_add_u32_e32 v1, v1, v7
	v_lshl_add_u32 v26, v1, 2, 16
	v_xor_b32_e32 v2, vcc_lo, v2
	v_xor_b32_e32 v1, vcc_hi, v3
	v_and_b32_e32 v8, exec_lo, v2
	v_lshlrev_b32_e32 v3, 30, v0
	v_mov_b32_e32 v2, v9
	v_cmp_gt_i64_e32 vcc, 0, v[2:3]
	v_not_b32_e32 v2, v3
	v_ashrrev_i32_e32 v2, 31, v2
	v_and_b32_e32 v1, exec_hi, v1
	v_xor_b32_e32 v3, vcc_hi, v2
	v_xor_b32_e32 v2, vcc_lo, v2
	v_and_b32_e32 v1, v1, v3
	v_and_b32_e32 v8, v8, v2
	v_lshlrev_b32_e32 v3, 29, v0
	v_mov_b32_e32 v2, v9
	v_cmp_gt_i64_e32 vcc, 0, v[2:3]
	v_not_b32_e32 v2, v3
	v_ashrrev_i32_e32 v2, 31, v2
	v_xor_b32_e32 v3, vcc_hi, v2
	v_xor_b32_e32 v2, vcc_lo, v2
	v_and_b32_e32 v1, v1, v3
	v_and_b32_e32 v8, v8, v2
	v_lshlrev_b32_e32 v3, 28, v0
	v_mov_b32_e32 v2, v9
	v_cmp_gt_i64_e32 vcc, 0, v[2:3]
	v_not_b32_e32 v2, v3
	v_ashrrev_i32_e32 v2, 31, v2
	;; [unrolled: 9-line block ×5, first 2 shown]
	v_xor_b32_e32 v3, vcc_hi, v2
	v_and_b32_e32 v3, v1, v3
	v_lshlrev_b32_e32 v1, 24, v0
	v_mov_b32_e32 v0, v9
	v_xor_b32_e32 v2, vcc_lo, v2
	v_cmp_gt_i64_e32 vcc, 0, v[0:1]
	v_not_b32_e32 v0, v1
	v_ashrrev_i32_e32 v0, 31, v0
	v_and_b32_e32 v2, v8, v2
	v_xor_b32_e32 v1, vcc_hi, v0
	v_xor_b32_e32 v0, vcc_lo, v0
	v_and_b32_e32 v0, v2, v0
	v_and_b32_e32 v1, v3, v1
	v_mbcnt_lo_u32_b32 v2, v0, 0
	v_mbcnt_hi_u32_b32 v8, v1, v2
	v_cmp_eq_u32_e32 vcc, 0, v8
	v_cmp_ne_u64_e64 s[30:31], 0, v[0:1]
	s_and_b64 s[40:41], s[30:31], vcc
	ds_write2_b64 v5, v[10:11], v[12:13] offset0:2 offset1:3
	s_waitcnt lgkmcnt(0)
	s_barrier
	s_waitcnt lgkmcnt(0)
	; wave barrier
	s_and_saveexec_b64 s[30:31], s[40:41]
	s_cbranch_execz .LBB48_8
; %bb.7:                                ;   in Loop: Header=BB48_6 Depth=2
	v_bcnt_u32_b32 v0, v0, 0
	v_bcnt_u32_b32 v0, v1, v0
	ds_write_b32 v26, v0
.LBB48_8:                               ;   in Loop: Header=BB48_6 Depth=2
	s_or_b64 exec, exec, s[30:31]
	; wave barrier
	s_waitcnt lgkmcnt(0)
	s_barrier
	ds_read2_b64 v[0:3], v5 offset0:2 offset1:3
	s_waitcnt lgkmcnt(0)
	v_add_u32_e32 v27, v1, v0
	v_add3_u32 v3, v27, v2, v3
	s_nop 1
	v_mov_b32_dpp v27, v3 row_shr:1 row_mask:0xf bank_mask:0xf
	v_cndmask_b32_e64 v27, v27, 0, s[2:3]
	v_add_u32_e32 v3, v27, v3
	s_nop 1
	v_mov_b32_dpp v27, v3 row_shr:2 row_mask:0xf bank_mask:0xf
	v_cndmask_b32_e64 v27, 0, v27, s[4:5]
	v_add_u32_e32 v3, v3, v27
	;; [unrolled: 4-line block ×4, first 2 shown]
	s_nop 1
	v_mov_b32_dpp v27, v3 row_bcast:15 row_mask:0xf bank_mask:0xf
	v_cndmask_b32_e64 v27, v27, 0, s[10:11]
	v_add_u32_e32 v3, v3, v27
	s_nop 1
	v_mov_b32_dpp v27, v3 row_bcast:31 row_mask:0xf bank_mask:0xf
	v_cndmask_b32_e64 v27, 0, v27, s[12:13]
	v_add_u32_e32 v3, v3, v27
	s_and_saveexec_b64 s[30:31], s[14:15]
	s_cbranch_execz .LBB48_10
; %bb.9:                                ;   in Loop: Header=BB48_6 Depth=2
	ds_write_b32 v18, v3
.LBB48_10:                              ;   in Loop: Header=BB48_6 Depth=2
	s_or_b64 exec, exec, s[30:31]
	s_waitcnt lgkmcnt(0)
	s_barrier
	s_and_saveexec_b64 s[30:31], s[16:17]
	s_cbranch_execz .LBB48_12
; %bb.11:                               ;   in Loop: Header=BB48_6 Depth=2
	ds_read_b32 v27, v19
	s_waitcnt lgkmcnt(0)
	s_nop 0
	v_mov_b32_dpp v28, v27 row_shr:1 row_mask:0xf bank_mask:0xf
	v_cndmask_b32_e64 v28, v28, 0, s[26:27]
	v_add_u32_e32 v27, v28, v27
	s_nop 1
	v_mov_b32_dpp v28, v27 row_shr:2 row_mask:0xf bank_mask:0xf
	v_cndmask_b32_e64 v28, 0, v28, s[28:29]
	v_add_u32_e32 v27, v27, v28
	ds_write_b32 v19, v27
.LBB48_12:                              ;   in Loop: Header=BB48_6 Depth=2
	s_or_b64 exec, exec, s[30:31]
	v_mov_b32_e32 v27, 0
	s_waitcnt lgkmcnt(0)
	s_barrier
	s_and_saveexec_b64 s[30:31], s[18:19]
	s_cbranch_execz .LBB48_14
; %bb.13:                               ;   in Loop: Header=BB48_6 Depth=2
	ds_read_b32 v27, v20
.LBB48_14:                              ;   in Loop: Header=BB48_6 Depth=2
	s_or_b64 exec, exec, s[30:31]
	s_waitcnt lgkmcnt(0)
	v_add_u32_e32 v3, v27, v3
	ds_bpermute_b32 v3, v17, v3
	s_cmp_gt_u32 s36, 55
	s_waitcnt lgkmcnt(0)
	v_cndmask_b32_e64 v3, v3, v27, s[20:21]
	v_cndmask_b32_e64 v28, v3, 0, s[22:23]
	v_add_u32_e32 v29, v28, v0
	v_add_u32_e32 v0, v29, v1
	;; [unrolled: 1-line block ×3, first 2 shown]
	ds_write2_b64 v5, v[28:29], v[0:1] offset0:2 offset1:3
	s_waitcnt lgkmcnt(0)
	s_barrier
	ds_read_b32 v0, v26
	s_waitcnt lgkmcnt(0)
	v_add_u32_e32 v0, v0, v8
	s_cbranch_scc0 .LBB48_5
; %bb.15:                               ;   in Loop: Header=BB48_2 Depth=1
                                        ; implicit-def: $vgpr2_vgpr3
                                        ; implicit-def: $sgpr36_sgpr37
.LBB48_16:                              ;   in Loop: Header=BB48_2 Depth=1
	v_lshlrev_b32_e32 v0, 3, v0
	s_barrier
	ds_write_b64 v0, v[14:15]
	s_waitcnt lgkmcnt(0)
	s_barrier
	ds_read_b64 v[2:3], v22
	s_waitcnt lgkmcnt(0)
	s_barrier
	s_and_saveexec_b64 s[30:31], s[0:1]
	s_cbranch_execz .LBB48_18
; %bb.17:                               ;   in Loop: Header=BB48_2 Depth=1
	ds_write2st64_b32 v25, v24, v24 offset0:16 offset1:20
.LBB48_18:                              ;   in Loop: Header=BB48_2 Depth=1
	s_or_b64 exec, exec, s[30:31]
	s_waitcnt lgkmcnt(0)
	s_barrier
	ds_write_b64 v22, v[2:3]
	s_waitcnt lgkmcnt(0)
	s_barrier
	s_and_saveexec_b64 s[30:31], s[24:25]
	s_cbranch_execz .LBB48_21
; %bb.19:                               ;   in Loop: Header=BB48_2 Depth=1
	ds_read_b32 v0, v23
	s_waitcnt lgkmcnt(0)
	v_cmp_ne_u32_e32 vcc, v0, v2
	s_and_b64 exec, exec, vcc
	s_cbranch_execz .LBB48_21
; %bb.20:                               ;   in Loop: Header=BB48_2 Depth=1
	v_lshlrev_b32_e32 v0, 2, v2
	ds_write_b32 v0, v6 offset:4096
	ds_read_b32 v0, v23
	s_waitcnt lgkmcnt(0)
	v_lshlrev_b32_e32 v0, 2, v0
	ds_write_b32 v0, v6 offset:5120
.LBB48_21:                              ;   in Loop: Header=BB48_2 Depth=1
	s_or_b64 exec, exec, s[30:31]
	s_waitcnt lgkmcnt(0)
	s_barrier
	s_and_saveexec_b64 s[30:31], s[22:23]
	s_cbranch_execz .LBB48_23
; %bb.22:                               ;   in Loop: Header=BB48_2 Depth=1
	v_lshlrev_b32_e32 v0, 2, v2
	ds_write_b32 v0, v9 offset:4096
.LBB48_23:                              ;   in Loop: Header=BB48_2 Depth=1
	s_or_b64 exec, exec, s[30:31]
	s_waitcnt lgkmcnt(0)
	s_barrier
	s_and_saveexec_b64 s[30:31], s[0:1]
	s_cbranch_execz .LBB48_1
; %bb.24:                               ;   in Loop: Header=BB48_2 Depth=1
	ds_read2st64_b32 v[0:1], v25 offset0:16 offset1:20
	ds_read_b64 v[14:15], v16
	s_waitcnt lgkmcnt(1)
	v_sub_u32_e32 v8, v1, v0
	s_waitcnt lgkmcnt(0)
	v_lshl_add_u64 v[0:1], v[14:15], 0, v[8:9]
	ds_write_b64 v16, v[0:1]
	s_branch .LBB48_1
.LBB48_25:
	s_and_saveexec_b64 s[2:3], s[0:1]
	s_cbranch_execz .LBB48_27
; %bb.26:
	ds_read_b64 v[0:1], v16
	v_mov_b32_e32 v2, s38
	v_mov_b32_e32 v3, s39
	;; [unrolled: 1-line block ×3, first 2 shown]
	v_lshl_add_u64 v[2:3], v[4:5], 3, v[2:3]
	s_waitcnt lgkmcnt(0)
	global_store_dwordx2 v[2:3], v[0:1], off
.LBB48_27:
	s_endpgm
	.section	.rodata,"a",@progbits
	.p2align	6, 0x0
	.amdhsa_kernel _Z6kernelI9histogramILN6hipcub23BlockHistogramAlgorithmE1EEyLj256ELj1ELj256ELj100EEvPKT0_PS4_
		.amdhsa_group_segment_fixed_size 8192
		.amdhsa_private_segment_fixed_size 0
		.amdhsa_kernarg_size 272
		.amdhsa_user_sgpr_count 2
		.amdhsa_user_sgpr_dispatch_ptr 0
		.amdhsa_user_sgpr_queue_ptr 0
		.amdhsa_user_sgpr_kernarg_segment_ptr 1
		.amdhsa_user_sgpr_dispatch_id 0
		.amdhsa_user_sgpr_kernarg_preload_length 0
		.amdhsa_user_sgpr_kernarg_preload_offset 0
		.amdhsa_user_sgpr_private_segment_size 0
		.amdhsa_uses_dynamic_stack 0
		.amdhsa_enable_private_segment 0
		.amdhsa_system_sgpr_workgroup_id_x 1
		.amdhsa_system_sgpr_workgroup_id_y 0
		.amdhsa_system_sgpr_workgroup_id_z 0
		.amdhsa_system_sgpr_workgroup_info 0
		.amdhsa_system_vgpr_workitem_id 2
		.amdhsa_next_free_vgpr 30
		.amdhsa_next_free_sgpr 42
		.amdhsa_accum_offset 32
		.amdhsa_reserve_vcc 1
		.amdhsa_float_round_mode_32 0
		.amdhsa_float_round_mode_16_64 0
		.amdhsa_float_denorm_mode_32 3
		.amdhsa_float_denorm_mode_16_64 3
		.amdhsa_dx10_clamp 1
		.amdhsa_ieee_mode 1
		.amdhsa_fp16_overflow 0
		.amdhsa_tg_split 0
		.amdhsa_exception_fp_ieee_invalid_op 0
		.amdhsa_exception_fp_denorm_src 0
		.amdhsa_exception_fp_ieee_div_zero 0
		.amdhsa_exception_fp_ieee_overflow 0
		.amdhsa_exception_fp_ieee_underflow 0
		.amdhsa_exception_fp_ieee_inexact 0
		.amdhsa_exception_int_div_zero 0
	.end_amdhsa_kernel
	.section	.text._Z6kernelI9histogramILN6hipcub23BlockHistogramAlgorithmE1EEyLj256ELj1ELj256ELj100EEvPKT0_PS4_,"axG",@progbits,_Z6kernelI9histogramILN6hipcub23BlockHistogramAlgorithmE1EEyLj256ELj1ELj256ELj100EEvPKT0_PS4_,comdat
.Lfunc_end48:
	.size	_Z6kernelI9histogramILN6hipcub23BlockHistogramAlgorithmE1EEyLj256ELj1ELj256ELj100EEvPKT0_PS4_, .Lfunc_end48-_Z6kernelI9histogramILN6hipcub23BlockHistogramAlgorithmE1EEyLj256ELj1ELj256ELj100EEvPKT0_PS4_
                                        ; -- End function
	.section	.AMDGPU.csdata,"",@progbits
; Kernel info:
; codeLenInByte = 1632
; NumSgprs: 48
; NumVgprs: 30
; NumAgprs: 0
; TotalNumVgprs: 30
; ScratchSize: 0
; MemoryBound: 0
; FloatMode: 240
; IeeeMode: 1
; LDSByteSize: 8192 bytes/workgroup (compile time only)
; SGPRBlocks: 5
; VGPRBlocks: 3
; NumSGPRsForWavesPerEU: 48
; NumVGPRsForWavesPerEU: 30
; AccumOffset: 32
; Occupancy: 8
; WaveLimiterHint : 0
; COMPUTE_PGM_RSRC2:SCRATCH_EN: 0
; COMPUTE_PGM_RSRC2:USER_SGPR: 2
; COMPUTE_PGM_RSRC2:TRAP_HANDLER: 0
; COMPUTE_PGM_RSRC2:TGID_X_EN: 1
; COMPUTE_PGM_RSRC2:TGID_Y_EN: 0
; COMPUTE_PGM_RSRC2:TGID_Z_EN: 0
; COMPUTE_PGM_RSRC2:TIDIG_COMP_CNT: 2
; COMPUTE_PGM_RSRC3_GFX90A:ACCUM_OFFSET: 7
; COMPUTE_PGM_RSRC3_GFX90A:TG_SPLIT: 0
	.section	.text._Z6kernelI9histogramILN6hipcub23BlockHistogramAlgorithmE1EEyLj256ELj2ELj256ELj100EEvPKT0_PS4_,"axG",@progbits,_Z6kernelI9histogramILN6hipcub23BlockHistogramAlgorithmE1EEyLj256ELj2ELj256ELj100EEvPKT0_PS4_,comdat
	.protected	_Z6kernelI9histogramILN6hipcub23BlockHistogramAlgorithmE1EEyLj256ELj2ELj256ELj100EEvPKT0_PS4_ ; -- Begin function _Z6kernelI9histogramILN6hipcub23BlockHistogramAlgorithmE1EEyLj256ELj2ELj256ELj100EEvPKT0_PS4_
	.globl	_Z6kernelI9histogramILN6hipcub23BlockHistogramAlgorithmE1EEyLj256ELj2ELj256ELj100EEvPKT0_PS4_
	.p2align	8
	.type	_Z6kernelI9histogramILN6hipcub23BlockHistogramAlgorithmE1EEyLj256ELj2ELj256ELj100EEvPKT0_PS4_,@function
_Z6kernelI9histogramILN6hipcub23BlockHistogramAlgorithmE1EEyLj256ELj2ELj256ELj100EEvPKT0_PS4_: ; @_Z6kernelI9histogramILN6hipcub23BlockHistogramAlgorithmE1EEyLj256ELj2ELj256ELj100EEvPKT0_PS4_
; %bb.0:
	s_load_dwordx4 s[36:39], s[0:1], 0x0
	s_load_dword s3, s[0:1], 0x1c
	v_and_b32_e32 v6, 0x3ff, v0
	v_lshlrev_b32_e32 v7, 1, v6
	v_lshl_or_b32 v8, s2, 9, v7
	s_waitcnt lgkmcnt(0)
	v_mov_b32_e32 v2, s36
	v_mov_b32_e32 v3, s37
	;; [unrolled: 1-line block ×3, first 2 shown]
	v_lshl_add_u64 v[2:3], v[8:9], 3, v[2:3]
	global_load_dwordx4 v[2:5], v[2:3], off
	v_mbcnt_lo_u32_b32 v1, -1, 0
	v_mbcnt_hi_u32_b32 v8, -1, v1
	v_and_b32_e32 v10, 1, v8
	v_lshrrev_b32_e32 v1, 1, v8
	v_cmp_eq_u32_e64 s[34:35], 0, v10
	v_and_b32_e32 v10, 64, v8
	v_or_b32_e32 v1, v1, v10
	v_lshlrev_b32_e32 v16, 2, v1
	s_lshr_b32 s4, s3, 16
	v_bfe_u32 v1, v0, 10, 10
	v_bfe_u32 v0, v0, 20, 10
	s_and_b32 s3, s3, 0xffff
	v_mad_u32_u24 v0, v0, s4, v1
	v_mad_u64_u32 v[0:1], s[4:5], v0, s3, v[6:7]
	v_lshrrev_b32_e32 v19, 6, v0
	v_and_b32_e32 v0, 15, v8
	v_cmp_eq_u32_e64 s[4:5], 0, v0
	v_cmp_lt_u32_e64 s[6:7], 1, v0
	v_cmp_lt_u32_e64 s[8:9], 3, v0
	;; [unrolled: 1-line block ×3, first 2 shown]
	v_and_b32_e32 v0, 16, v8
	v_cmp_eq_u32_e64 s[12:13], 0, v0
	v_or_b32_e32 v0, 63, v6
	v_cmp_eq_u32_e64 s[16:17], v0, v6
	v_add_u32_e32 v0, -1, v8
	v_cmp_lt_i32_e32 vcc, v0, v10
	v_lshlrev_b32_e32 v18, 4, v6
	s_movk_i32 s3, 0x180
	v_cndmask_b32_e32 v0, v0, v8, vcc
	v_lshlrev_b32_e32 v20, 2, v0
	v_lshrrev_b32_e32 v0, 4, v6
	v_and_b32_e32 v22, 12, v0
	v_and_b32_e32 v0, 3, v8
	v_mad_i32_i24 v23, v6, -12, v18
	v_cmp_eq_u32_e64 s[28:29], 0, v0
	v_cmp_lt_u32_e64 s[30:31], 1, v0
	v_and_or_b32 v0, v7, s3, v8
	s_mov_b32 s40, 0
	v_lshlrev_b32_e32 v1, 2, v6
	v_lshlrev_b32_e32 v25, 3, v0
	v_mad_u32_u24 v26, v6, 12, v23
	v_lshlrev_b32_e32 v0, 3, v6
	s_movk_i32 s0, 0x100
	v_sub_u32_e32 v28, v26, v0
	v_add_u32_e32 v21, 0x1800, v0
	v_sub_u32_e32 v0, 0, v1
	s_mov_b32 s41, s40
	s_mov_b32 s36, s40
	;; [unrolled: 1-line block ×3, first 2 shown]
	v_cmp_gt_u32_e64 s[0:1], s0, v6
	v_xor_b32_e32 v17, 0x80, v16
	v_cmp_lt_u32_e64 s[14:15], 31, v8
	v_cmp_gt_u32_e64 s[18:19], 4, v6
	v_cmp_lt_u32_e64 s[20:21], 63, v6
	v_cmp_eq_u32_e64 s[22:23], 0, v8
	v_cmp_eq_u32_e64 s[24:25], 0, v6
	v_cmp_ne_u32_e64 s[26:27], 0, v6
	v_add_u32_e32 v24, -4, v22
	v_or_b32_e32 v27, 1, v7
	v_add_u32_e32 v29, -8, v28
	v_mov_b64_e32 v[10:11], s[40:41]
	v_mov_b64_e32 v[12:13], s[36:37]
	v_mov_b32_e32 v30, 0x200
	v_add_u32_e32 v31, v28, v0
	s_branch .LBB49_2
.LBB49_1:                               ;   in Loop: Header=BB49_2 Depth=1
	s_or_b64 exec, exec, s[36:37]
	s_add_i32 s40, s40, 1
	s_cmpk_eq_i32 s40, 0x64
	s_cbranch_scc1 .LBB49_29
.LBB49_2:                               ; =>This Loop Header: Depth=1
                                        ;     Child Loop BB49_6 Depth 2
	s_and_saveexec_b64 s[36:37], s[0:1]
	s_cbranch_execz .LBB49_4
; %bb.3:                                ;   in Loop: Header=BB49_2 Depth=1
	v_mov_b32_e32 v8, v9
	ds_write_b64 v21, v[8:9]
.LBB49_4:                               ;   in Loop: Header=BB49_2 Depth=1
	s_or_b64 exec, exec, s[36:37]
	s_waitcnt vmcnt(0)
	ds_bpermute_b32 v0, v16, v2
	ds_bpermute_b32 v1, v16, v3
	;; [unrolled: 1-line block ×8, first 2 shown]
	s_waitcnt lgkmcnt(4)
	v_cndmask_b32_e64 v1, v14, v1, s[34:35]
	v_cndmask_b32_e64 v0, v8, v0, s[34:35]
	s_mov_b64 s[42:43], 0
	s_waitcnt lgkmcnt(1)
	v_cndmask_b32_e64 v3, v5, v3, s[34:35]
	s_waitcnt lgkmcnt(0)
	v_cndmask_b32_e64 v2, v4, v2, s[34:35]
	s_barrier
	s_barrier
	s_branch .LBB49_6
.LBB49_5:                               ;   in Loop: Header=BB49_6 Depth=2
	v_lshlrev_b32_e32 v0, 3, v32
	s_barrier
	ds_write_b64 v0, v[14:15]
	v_lshlrev_b32_e32 v0, 3, v8
	ds_write_b64 v0, v[4:5]
	s_waitcnt lgkmcnt(0)
	s_barrier
	ds_read2st64_b64 v[0:3], v25 offset1:1
	s_add_u32 s42, s42, 8
	s_addc_u32 s43, s43, 0
	s_waitcnt lgkmcnt(0)
	s_barrier
	s_cbranch_execz .LBB49_18
.LBB49_6:                               ;   Parent Loop BB49_2 Depth=1
                                        ; =>  This Inner Loop Header: Depth=2
	v_mov_b64_e32 v[14:15], v[0:1]
	v_lshrrev_b64 v[0:1], s42, v[14:15]
	v_lshlrev_b32_e32 v1, 2, v0
	v_and_b32_e32 v8, 1, v0
	v_mov_b64_e32 v[4:5], v[2:3]
	v_and_b32_e32 v1, 0x3fc, v1
	v_lshl_add_u64 v[2:3], v[8:9], 0, -1
	v_cmp_ne_u32_e32 vcc, 0, v8
	v_add_u32_e32 v1, v1, v19
	v_lshl_add_u32 v32, v1, 2, 16
	v_xor_b32_e32 v2, vcc_lo, v2
	v_xor_b32_e32 v1, vcc_hi, v3
	v_and_b32_e32 v8, exec_lo, v2
	v_lshlrev_b32_e32 v3, 30, v0
	v_mov_b32_e32 v2, v9
	v_cmp_gt_i64_e32 vcc, 0, v[2:3]
	v_not_b32_e32 v2, v3
	v_ashrrev_i32_e32 v2, 31, v2
	v_and_b32_e32 v1, exec_hi, v1
	v_xor_b32_e32 v3, vcc_hi, v2
	v_xor_b32_e32 v2, vcc_lo, v2
	v_and_b32_e32 v1, v1, v3
	v_and_b32_e32 v8, v8, v2
	v_lshlrev_b32_e32 v3, 29, v0
	v_mov_b32_e32 v2, v9
	v_cmp_gt_i64_e32 vcc, 0, v[2:3]
	v_not_b32_e32 v2, v3
	v_ashrrev_i32_e32 v2, 31, v2
	v_xor_b32_e32 v3, vcc_hi, v2
	v_xor_b32_e32 v2, vcc_lo, v2
	v_and_b32_e32 v1, v1, v3
	v_and_b32_e32 v8, v8, v2
	v_lshlrev_b32_e32 v3, 28, v0
	v_mov_b32_e32 v2, v9
	v_cmp_gt_i64_e32 vcc, 0, v[2:3]
	v_not_b32_e32 v2, v3
	v_ashrrev_i32_e32 v2, 31, v2
	;; [unrolled: 9-line block ×5, first 2 shown]
	v_xor_b32_e32 v3, vcc_hi, v2
	v_and_b32_e32 v3, v1, v3
	v_lshlrev_b32_e32 v1, 24, v0
	v_mov_b32_e32 v0, v9
	v_xor_b32_e32 v2, vcc_lo, v2
	v_cmp_gt_i64_e32 vcc, 0, v[0:1]
	v_not_b32_e32 v0, v1
	v_ashrrev_i32_e32 v0, 31, v0
	v_and_b32_e32 v2, v8, v2
	v_xor_b32_e32 v1, vcc_hi, v0
	v_xor_b32_e32 v0, vcc_lo, v0
	v_and_b32_e32 v0, v2, v0
	v_and_b32_e32 v1, v3, v1
	v_mbcnt_lo_u32_b32 v2, v0, 0
	v_mbcnt_hi_u32_b32 v33, v1, v2
	v_cmp_eq_u32_e32 vcc, 0, v33
	v_cmp_ne_u64_e64 s[36:37], 0, v[0:1]
	s_and_b64 s[44:45], s[36:37], vcc
	ds_write2_b64 v18, v[10:11], v[12:13] offset0:2 offset1:3
	s_waitcnt lgkmcnt(0)
	s_barrier
	s_waitcnt lgkmcnt(0)
	; wave barrier
	s_and_saveexec_b64 s[36:37], s[44:45]
	s_cbranch_execz .LBB49_8
; %bb.7:                                ;   in Loop: Header=BB49_6 Depth=2
	v_bcnt_u32_b32 v0, v0, 0
	v_bcnt_u32_b32 v0, v1, v0
	ds_write_b32 v32, v0
.LBB49_8:                               ;   in Loop: Header=BB49_6 Depth=2
	s_or_b64 exec, exec, s[36:37]
	v_lshrrev_b64 v[0:1], s42, v[4:5]
	v_lshlrev_b32_e32 v1, 2, v0
	v_and_b32_e32 v8, 1, v0
	v_and_b32_e32 v1, 0x3fc, v1
	v_lshl_add_u64 v[2:3], v[8:9], 0, -1
	v_cmp_ne_u32_e32 vcc, 0, v8
	v_add_lshl_u32 v1, v1, v19, 2
	s_nop 0
	v_xor_b32_e32 v2, vcc_lo, v2
	; wave barrier
	v_add_u32_e32 v35, 16, v1
	ds_read_b32 v34, v1 offset:16
	v_xor_b32_e32 v1, vcc_hi, v3
	v_and_b32_e32 v8, exec_lo, v2
	v_lshlrev_b32_e32 v3, 30, v0
	v_mov_b32_e32 v2, v9
	v_cmp_gt_i64_e32 vcc, 0, v[2:3]
	v_not_b32_e32 v2, v3
	v_ashrrev_i32_e32 v2, 31, v2
	v_and_b32_e32 v1, exec_hi, v1
	v_xor_b32_e32 v3, vcc_hi, v2
	v_xor_b32_e32 v2, vcc_lo, v2
	v_and_b32_e32 v1, v1, v3
	v_and_b32_e32 v8, v8, v2
	v_lshlrev_b32_e32 v3, 29, v0
	v_mov_b32_e32 v2, v9
	v_cmp_gt_i64_e32 vcc, 0, v[2:3]
	v_not_b32_e32 v2, v3
	v_ashrrev_i32_e32 v2, 31, v2
	v_xor_b32_e32 v3, vcc_hi, v2
	v_xor_b32_e32 v2, vcc_lo, v2
	v_and_b32_e32 v1, v1, v3
	v_and_b32_e32 v8, v8, v2
	v_lshlrev_b32_e32 v3, 28, v0
	v_mov_b32_e32 v2, v9
	v_cmp_gt_i64_e32 vcc, 0, v[2:3]
	v_not_b32_e32 v2, v3
	v_ashrrev_i32_e32 v2, 31, v2
	v_xor_b32_e32 v3, vcc_hi, v2
	v_xor_b32_e32 v2, vcc_lo, v2
	v_and_b32_e32 v1, v1, v3
	v_and_b32_e32 v8, v8, v2
	v_lshlrev_b32_e32 v3, 27, v0
	v_mov_b32_e32 v2, v9
	v_cmp_gt_i64_e32 vcc, 0, v[2:3]
	v_not_b32_e32 v2, v3
	v_ashrrev_i32_e32 v2, 31, v2
	v_xor_b32_e32 v3, vcc_hi, v2
	v_xor_b32_e32 v2, vcc_lo, v2
	v_and_b32_e32 v1, v1, v3
	v_and_b32_e32 v8, v8, v2
	v_lshlrev_b32_e32 v3, 26, v0
	v_mov_b32_e32 v2, v9
	v_cmp_gt_i64_e32 vcc, 0, v[2:3]
	v_not_b32_e32 v2, v3
	v_ashrrev_i32_e32 v2, 31, v2
	v_xor_b32_e32 v3, vcc_hi, v2
	v_xor_b32_e32 v2, vcc_lo, v2
	v_and_b32_e32 v1, v1, v3
	v_and_b32_e32 v8, v8, v2
	v_lshlrev_b32_e32 v3, 25, v0
	v_mov_b32_e32 v2, v9
	v_cmp_gt_i64_e32 vcc, 0, v[2:3]
	v_not_b32_e32 v2, v3
	v_ashrrev_i32_e32 v2, 31, v2
	v_xor_b32_e32 v3, vcc_hi, v2
	v_and_b32_e32 v3, v1, v3
	v_lshlrev_b32_e32 v1, 24, v0
	v_mov_b32_e32 v0, v9
	v_xor_b32_e32 v2, vcc_lo, v2
	v_cmp_gt_i64_e32 vcc, 0, v[0:1]
	v_not_b32_e32 v0, v1
	v_ashrrev_i32_e32 v0, 31, v0
	v_and_b32_e32 v2, v8, v2
	v_xor_b32_e32 v1, vcc_hi, v0
	v_xor_b32_e32 v0, vcc_lo, v0
	v_and_b32_e32 v0, v2, v0
	v_and_b32_e32 v1, v3, v1
	v_mbcnt_lo_u32_b32 v2, v0, 0
	v_mbcnt_hi_u32_b32 v8, v1, v2
	v_cmp_eq_u32_e32 vcc, 0, v8
	v_cmp_ne_u64_e64 s[36:37], 0, v[0:1]
	s_and_b64 s[44:45], s[36:37], vcc
	; wave barrier
	s_and_saveexec_b64 s[36:37], s[44:45]
	s_cbranch_execz .LBB49_10
; %bb.9:                                ;   in Loop: Header=BB49_6 Depth=2
	v_bcnt_u32_b32 v0, v0, 0
	v_bcnt_u32_b32 v0, v1, v0
	s_waitcnt lgkmcnt(0)
	v_add_u32_e32 v0, v34, v0
	ds_write_b32 v35, v0
.LBB49_10:                              ;   in Loop: Header=BB49_6 Depth=2
	s_or_b64 exec, exec, s[36:37]
	; wave barrier
	s_waitcnt lgkmcnt(0)
	s_barrier
	ds_read2_b64 v[0:3], v18 offset0:2 offset1:3
	s_waitcnt lgkmcnt(0)
	v_add_u32_e32 v36, v1, v0
	v_add3_u32 v3, v36, v2, v3
	s_nop 1
	v_mov_b32_dpp v36, v3 row_shr:1 row_mask:0xf bank_mask:0xf
	v_cndmask_b32_e64 v36, v36, 0, s[4:5]
	v_add_u32_e32 v3, v36, v3
	s_nop 1
	v_mov_b32_dpp v36, v3 row_shr:2 row_mask:0xf bank_mask:0xf
	v_cndmask_b32_e64 v36, 0, v36, s[6:7]
	v_add_u32_e32 v3, v3, v36
	;; [unrolled: 4-line block ×4, first 2 shown]
	s_nop 1
	v_mov_b32_dpp v36, v3 row_bcast:15 row_mask:0xf bank_mask:0xf
	v_cndmask_b32_e64 v36, v36, 0, s[12:13]
	v_add_u32_e32 v3, v3, v36
	s_nop 1
	v_mov_b32_dpp v36, v3 row_bcast:31 row_mask:0xf bank_mask:0xf
	v_cndmask_b32_e64 v36, 0, v36, s[14:15]
	v_add_u32_e32 v3, v3, v36
	s_and_saveexec_b64 s[36:37], s[16:17]
	s_cbranch_execz .LBB49_12
; %bb.11:                               ;   in Loop: Header=BB49_6 Depth=2
	ds_write_b32 v22, v3
.LBB49_12:                              ;   in Loop: Header=BB49_6 Depth=2
	s_or_b64 exec, exec, s[36:37]
	s_waitcnt lgkmcnt(0)
	s_barrier
	s_and_saveexec_b64 s[36:37], s[18:19]
	s_cbranch_execz .LBB49_14
; %bb.13:                               ;   in Loop: Header=BB49_6 Depth=2
	ds_read_b32 v36, v23
	s_waitcnt lgkmcnt(0)
	s_nop 0
	v_mov_b32_dpp v37, v36 row_shr:1 row_mask:0xf bank_mask:0xf
	v_cndmask_b32_e64 v37, v37, 0, s[28:29]
	v_add_u32_e32 v36, v37, v36
	s_nop 1
	v_mov_b32_dpp v37, v36 row_shr:2 row_mask:0xf bank_mask:0xf
	v_cndmask_b32_e64 v37, 0, v37, s[30:31]
	v_add_u32_e32 v36, v36, v37
	ds_write_b32 v23, v36
.LBB49_14:                              ;   in Loop: Header=BB49_6 Depth=2
	s_or_b64 exec, exec, s[36:37]
	v_mov_b32_e32 v36, 0
	s_waitcnt lgkmcnt(0)
	s_barrier
	s_and_saveexec_b64 s[36:37], s[20:21]
	s_cbranch_execz .LBB49_16
; %bb.15:                               ;   in Loop: Header=BB49_6 Depth=2
	ds_read_b32 v36, v24
.LBB49_16:                              ;   in Loop: Header=BB49_6 Depth=2
	s_or_b64 exec, exec, s[36:37]
	s_waitcnt lgkmcnt(0)
	v_add_u32_e32 v3, v36, v3
	ds_bpermute_b32 v3, v20, v3
	s_cmp_gt_u32 s42, 55
	s_waitcnt lgkmcnt(0)
	v_cndmask_b32_e64 v3, v3, v36, s[22:23]
	v_cndmask_b32_e64 v36, v3, 0, s[24:25]
	v_add_u32_e32 v37, v36, v0
	v_add_u32_e32 v0, v37, v1
	;; [unrolled: 1-line block ×3, first 2 shown]
	ds_write2_b64 v18, v[36:37], v[0:1] offset0:2 offset1:3
	s_waitcnt lgkmcnt(0)
	s_barrier
	ds_read_b32 v0, v32
	ds_read_b32 v1, v35
	s_waitcnt lgkmcnt(1)
	v_add_u32_e32 v32, v0, v33
	s_waitcnt lgkmcnt(0)
	v_add3_u32 v8, v8, v34, v1
	s_cbranch_scc0 .LBB49_5
; %bb.17:                               ;   in Loop: Header=BB49_2 Depth=1
                                        ; implicit-def: $vgpr0_vgpr1
                                        ; implicit-def: $sgpr42_sgpr43
.LBB49_18:                              ;   in Loop: Header=BB49_2 Depth=1
	v_lshlrev_b32_e32 v0, 3, v32
	s_barrier
	ds_write_b64 v0, v[14:15]
	v_lshlrev_b32_e32 v0, 3, v8
	ds_write_b64 v0, v[4:5]
	s_waitcnt lgkmcnt(0)
	s_barrier
	ds_read2_b64 v[2:5], v26 offset1:1
	s_waitcnt lgkmcnt(0)
	s_barrier
	s_and_saveexec_b64 s[36:37], s[0:1]
	s_cbranch_execz .LBB49_20
; %bb.19:                               ;   in Loop: Header=BB49_2 Depth=1
	ds_write2st64_b32 v31, v30, v30 offset0:16 offset1:20
.LBB49_20:                              ;   in Loop: Header=BB49_2 Depth=1
	s_or_b64 exec, exec, s[36:37]
	v_cmp_ne_u32_e32 vcc, v2, v4
	v_lshlrev_b32_e32 v0, 2, v2
	s_waitcnt lgkmcnt(0)
	s_barrier
	ds_write_b64 v28, v[4:5]
	s_and_saveexec_b64 s[36:37], vcc
	s_cbranch_execz .LBB49_22
; %bb.21:                               ;   in Loop: Header=BB49_2 Depth=1
	v_lshlrev_b32_e32 v1, 2, v4
	ds_write_b32 v1, v27 offset:4096
	ds_write_b32 v0, v27 offset:5120
.LBB49_22:                              ;   in Loop: Header=BB49_2 Depth=1
	s_or_b64 exec, exec, s[36:37]
	s_waitcnt lgkmcnt(0)
	s_barrier
	s_and_saveexec_b64 s[36:37], s[26:27]
	s_cbranch_execz .LBB49_25
; %bb.23:                               ;   in Loop: Header=BB49_2 Depth=1
	ds_read_b32 v1, v29
	s_waitcnt lgkmcnt(0)
	v_cmp_ne_u32_e32 vcc, v2, v1
	s_and_b64 exec, exec, vcc
	s_cbranch_execz .LBB49_25
; %bb.24:                               ;   in Loop: Header=BB49_2 Depth=1
	ds_write_b32 v0, v7 offset:4096
	ds_read_b32 v1, v29
	s_waitcnt lgkmcnt(0)
	v_lshlrev_b32_e32 v1, 2, v1
	ds_write_b32 v1, v7 offset:5120
.LBB49_25:                              ;   in Loop: Header=BB49_2 Depth=1
	s_or_b64 exec, exec, s[36:37]
	s_waitcnt lgkmcnt(0)
	s_barrier
	s_and_saveexec_b64 s[36:37], s[24:25]
	s_cbranch_execz .LBB49_27
; %bb.26:                               ;   in Loop: Header=BB49_2 Depth=1
	ds_write_b32 v0, v9 offset:4096
.LBB49_27:                              ;   in Loop: Header=BB49_2 Depth=1
	s_or_b64 exec, exec, s[36:37]
	s_waitcnt lgkmcnt(0)
	s_barrier
	s_and_saveexec_b64 s[36:37], s[0:1]
	s_cbranch_execz .LBB49_1
; %bb.28:                               ;   in Loop: Header=BB49_2 Depth=1
	ds_read2st64_b32 v[0:1], v31 offset0:16 offset1:20
	ds_read_b64 v[14:15], v21
	s_waitcnt lgkmcnt(1)
	v_sub_u32_e32 v8, v1, v0
	s_waitcnt lgkmcnt(0)
	v_lshl_add_u64 v[0:1], v[14:15], 0, v[8:9]
	ds_write_b64 v21, v[0:1]
	s_branch .LBB49_1
.LBB49_29:
	s_and_saveexec_b64 s[4:5], s[0:1]
	s_cbranch_execz .LBB49_31
; %bb.30:
	ds_read_b64 v[2:3], v21
	v_mov_b32_e32 v0, s38
	v_mov_b32_e32 v1, s39
	v_lshl_or_b32 v4, s2, 8, v6
	v_mov_b32_e32 v5, 0
	v_lshl_add_u64 v[0:1], v[4:5], 3, v[0:1]
	s_waitcnt lgkmcnt(0)
	global_store_dwordx2 v[0:1], v[2:3], off
.LBB49_31:
	s_endpgm
	.section	.rodata,"a",@progbits
	.p2align	6, 0x0
	.amdhsa_kernel _Z6kernelI9histogramILN6hipcub23BlockHistogramAlgorithmE1EEyLj256ELj2ELj256ELj100EEvPKT0_PS4_
		.amdhsa_group_segment_fixed_size 8192
		.amdhsa_private_segment_fixed_size 0
		.amdhsa_kernarg_size 272
		.amdhsa_user_sgpr_count 2
		.amdhsa_user_sgpr_dispatch_ptr 0
		.amdhsa_user_sgpr_queue_ptr 0
		.amdhsa_user_sgpr_kernarg_segment_ptr 1
		.amdhsa_user_sgpr_dispatch_id 0
		.amdhsa_user_sgpr_kernarg_preload_length 0
		.amdhsa_user_sgpr_kernarg_preload_offset 0
		.amdhsa_user_sgpr_private_segment_size 0
		.amdhsa_uses_dynamic_stack 0
		.amdhsa_enable_private_segment 0
		.amdhsa_system_sgpr_workgroup_id_x 1
		.amdhsa_system_sgpr_workgroup_id_y 0
		.amdhsa_system_sgpr_workgroup_id_z 0
		.amdhsa_system_sgpr_workgroup_info 0
		.amdhsa_system_vgpr_workitem_id 2
		.amdhsa_next_free_vgpr 38
		.amdhsa_next_free_sgpr 46
		.amdhsa_accum_offset 40
		.amdhsa_reserve_vcc 1
		.amdhsa_float_round_mode_32 0
		.amdhsa_float_round_mode_16_64 0
		.amdhsa_float_denorm_mode_32 3
		.amdhsa_float_denorm_mode_16_64 3
		.amdhsa_dx10_clamp 1
		.amdhsa_ieee_mode 1
		.amdhsa_fp16_overflow 0
		.amdhsa_tg_split 0
		.amdhsa_exception_fp_ieee_invalid_op 0
		.amdhsa_exception_fp_denorm_src 0
		.amdhsa_exception_fp_ieee_div_zero 0
		.amdhsa_exception_fp_ieee_overflow 0
		.amdhsa_exception_fp_ieee_underflow 0
		.amdhsa_exception_fp_ieee_inexact 0
		.amdhsa_exception_int_div_zero 0
	.end_amdhsa_kernel
	.section	.text._Z6kernelI9histogramILN6hipcub23BlockHistogramAlgorithmE1EEyLj256ELj2ELj256ELj100EEvPKT0_PS4_,"axG",@progbits,_Z6kernelI9histogramILN6hipcub23BlockHistogramAlgorithmE1EEyLj256ELj2ELj256ELj100EEvPKT0_PS4_,comdat
.Lfunc_end49:
	.size	_Z6kernelI9histogramILN6hipcub23BlockHistogramAlgorithmE1EEyLj256ELj2ELj256ELj100EEvPKT0_PS4_, .Lfunc_end49-_Z6kernelI9histogramILN6hipcub23BlockHistogramAlgorithmE1EEyLj256ELj2ELj256ELj100EEvPKT0_PS4_
                                        ; -- End function
	.section	.AMDGPU.csdata,"",@progbits
; Kernel info:
; codeLenInByte = 2272
; NumSgprs: 52
; NumVgprs: 38
; NumAgprs: 0
; TotalNumVgprs: 38
; ScratchSize: 0
; MemoryBound: 0
; FloatMode: 240
; IeeeMode: 1
; LDSByteSize: 8192 bytes/workgroup (compile time only)
; SGPRBlocks: 6
; VGPRBlocks: 4
; NumSGPRsForWavesPerEU: 52
; NumVGPRsForWavesPerEU: 38
; AccumOffset: 40
; Occupancy: 8
; WaveLimiterHint : 0
; COMPUTE_PGM_RSRC2:SCRATCH_EN: 0
; COMPUTE_PGM_RSRC2:USER_SGPR: 2
; COMPUTE_PGM_RSRC2:TRAP_HANDLER: 0
; COMPUTE_PGM_RSRC2:TGID_X_EN: 1
; COMPUTE_PGM_RSRC2:TGID_Y_EN: 0
; COMPUTE_PGM_RSRC2:TGID_Z_EN: 0
; COMPUTE_PGM_RSRC2:TIDIG_COMP_CNT: 2
; COMPUTE_PGM_RSRC3_GFX90A:ACCUM_OFFSET: 9
; COMPUTE_PGM_RSRC3_GFX90A:TG_SPLIT: 0
	.section	.text._Z6kernelI9histogramILN6hipcub23BlockHistogramAlgorithmE1EEyLj256ELj3ELj256ELj100EEvPKT0_PS4_,"axG",@progbits,_Z6kernelI9histogramILN6hipcub23BlockHistogramAlgorithmE1EEyLj256ELj3ELj256ELj100EEvPKT0_PS4_,comdat
	.protected	_Z6kernelI9histogramILN6hipcub23BlockHistogramAlgorithmE1EEyLj256ELj3ELj256ELj100EEvPKT0_PS4_ ; -- Begin function _Z6kernelI9histogramILN6hipcub23BlockHistogramAlgorithmE1EEyLj256ELj3ELj256ELj100EEvPKT0_PS4_
	.globl	_Z6kernelI9histogramILN6hipcub23BlockHistogramAlgorithmE1EEyLj256ELj3ELj256ELj100EEvPKT0_PS4_
	.p2align	8
	.type	_Z6kernelI9histogramILN6hipcub23BlockHistogramAlgorithmE1EEyLj256ELj3ELj256ELj100EEvPKT0_PS4_,@function
_Z6kernelI9histogramILN6hipcub23BlockHistogramAlgorithmE1EEyLj256ELj3ELj256ELj100EEvPKT0_PS4_: ; @_Z6kernelI9histogramILN6hipcub23BlockHistogramAlgorithmE1EEyLj256ELj3ELj256ELj100EEvPKT0_PS4_
; %bb.0:
	s_load_dwordx4 s[36:39], s[0:1], 0x0
	s_load_dword s3, s[0:1], 0x1c
	s_lshl_b32 s0, s2, 8
	v_and_b32_e32 v10, 0x3ff, v0
	v_or_b32_e32 v6, s0, v10
	v_lshl_add_u32 v8, v6, 1, v6
	v_mov_b32_e32 v9, 0
	s_waitcnt lgkmcnt(0)
	v_lshl_add_u64 v[12:13], v[8:9], 3, s[36:37]
	v_add_u32_e32 v2, 1, v8
	v_mov_b32_e32 v3, v9
	v_add_u32_e32 v8, 2, v8
	v_lshl_add_u64 v[16:17], v[2:3], 3, s[36:37]
	v_lshl_add_u64 v[18:19], v[8:9], 3, s[36:37]
	global_load_dwordx2 v[14:15], v[12:13], off
	global_load_dwordx2 v[2:3], v[16:17], off
	;; [unrolled: 1-line block ×3, first 2 shown]
	v_mbcnt_lo_u32_b32 v1, -1, 0
	v_lshrrev_b32_e32 v11, 6, v10
	v_mbcnt_hi_u32_b32 v8, -1, v1
	v_mul_u32_u24_e32 v1, 0xc0, v11
	v_lshlrev_b32_e32 v7, 3, v1
	v_add_lshl_u32 v20, v8, v1, 3
	s_lshr_b32 s2, s3, 16
	v_bfe_u32 v1, v0, 10, 10
	v_bfe_u32 v0, v0, 20, 10
	s_and_b32 s3, s3, 0xffff
	v_mad_u32_u24 v0, v0, s2, v1
	v_mad_u64_u32 v[0:1], s[2:3], v0, s3, v[10:11]
	v_lshrrev_b32_e32 v22, 6, v0
	v_and_b32_e32 v0, 15, v8
	v_cmp_eq_u32_e64 s[2:3], 0, v0
	v_cmp_lt_u32_e64 s[4:5], 1, v0
	v_cmp_lt_u32_e64 s[6:7], 3, v0
	;; [unrolled: 1-line block ×3, first 2 shown]
	v_and_b32_e32 v0, 16, v8
	v_cmp_eq_u32_e64 s[10:11], 0, v0
	v_or_b32_e32 v0, 63, v10
	v_cmp_eq_u32_e64 s[14:15], v0, v10
	v_add_u32_e32 v0, -1, v8
	v_and_b32_e32 v12, 64, v8
	v_cmp_lt_i32_e32 vcc, v0, v12
	s_mov_b32 s34, 0
	v_lshlrev_b32_e32 v1, 2, v10
	v_cndmask_b32_e32 v0, v0, v8, vcc
	v_lshlrev_b32_e32 v23, 2, v0
	v_mul_i32_i24_e32 v0, -12, v10
	v_lshlrev_b32_e32 v21, 4, v10
	v_mad_u32_u24 v32, v10, 20, v0
	v_mov_b32_e32 v0, 0x1800
	s_movk_i32 s0, 0x100
	v_mad_u32_u24 v7, v8, 24, v7
	v_cmp_lt_u32_e64 s[12:13], 31, v8
	v_cmp_eq_u32_e64 s[20:21], 0, v8
	v_lshlrev_b32_e32 v25, 2, v11
	v_mad_i32_i24 v26, v10, -12, v21
	v_and_b32_e32 v8, 3, v8
	v_lshl_add_u32 v24, v10, 3, v0
	v_sub_u32_e32 v0, 0, v1
	s_mov_b32 s35, s34
	s_mov_b32 s30, s34
	;; [unrolled: 1-line block ×3, first 2 shown]
	v_cmp_gt_u32_e64 s[0:1], s0, v10
	v_cmp_gt_u32_e64 s[16:17], 4, v10
	v_cmp_lt_u32_e64 s[18:19], 63, v10
	v_cmp_eq_u32_e64 s[22:23], 0, v10
	v_cmp_ne_u32_e64 s[24:25], 0, v10
	v_cmp_eq_u32_e64 s[26:27], 0, v8
	v_cmp_lt_u32_e64 s[28:29], 1, v8
	v_add_u32_e32 v27, -4, v25
	v_mul_u32_u24_e32 v28, 3, v10
	v_mad_u32_u24 v29, v10, 20, v26
	v_mad_u32_u24 v30, v10, 3, 1
	;; [unrolled: 1-line block ×3, first 2 shown]
	v_add_u32_e32 v33, -8, v32
	v_mov_b64_e32 v[10:11], s[34:35]
	v_mov_b64_e32 v[12:13], s[30:31]
	v_mov_b32_e32 v34, 0x300
	v_add_u32_e32 v35, v32, v0
	s_branch .LBB50_2
.LBB50_1:                               ;   in Loop: Header=BB50_2 Depth=1
	s_or_b64 exec, exec, s[30:31]
	s_add_i32 s34, s34, 1
	s_cmpk_eq_i32 s34, 0x64
	s_cbranch_scc1 .LBB50_33
.LBB50_2:                               ; =>This Loop Header: Depth=1
                                        ;     Child Loop BB50_6 Depth 2
	s_and_saveexec_b64 s[30:31], s[0:1]
	s_cbranch_execz .LBB50_4
; %bb.3:                                ;   in Loop: Header=BB50_2 Depth=1
	v_mov_b32_e32 v8, v9
	ds_write_b64 v24, v[8:9]
.LBB50_4:                               ;   in Loop: Header=BB50_2 Depth=1
	s_or_b64 exec, exec, s[30:31]
	s_waitcnt vmcnt(1)
	v_mov_b32_e32 v0, v2
	v_mov_b32_e32 v1, v3
	s_waitcnt lgkmcnt(0)
	s_barrier
	ds_write2_b64 v7, v[14:15], v[0:1] offset1:1
	s_waitcnt vmcnt(0)
	ds_write_b64 v7, v[4:5] offset:16
	; wave barrier
	ds_read2st64_b64 v[0:3], v20 offset1:1
	ds_read_b64 v[18:19], v20 offset:1024
	s_mov_b64 s[36:37], 0
	s_waitcnt lgkmcnt(0)
	s_barrier
	s_waitcnt lgkmcnt(0)
	; wave barrier
	s_barrier
	s_branch .LBB50_6
.LBB50_5:                               ;   in Loop: Header=BB50_6 Depth=2
	v_lshlrev_b32_e32 v0, 3, v37
	s_barrier
	ds_write_b64 v0, v[16:17]
	v_lshlrev_b32_e32 v0, 3, v36
	ds_write_b64 v0, v[14:15]
	v_lshlrev_b32_e32 v0, 3, v8
	ds_write_b64 v0, v[4:5]
	s_waitcnt lgkmcnt(0)
	s_barrier
	ds_read2st64_b64 v[0:3], v20 offset1:1
	ds_read_b64 v[18:19], v20 offset:1024
	s_add_u32 s36, s36, 8
	s_addc_u32 s37, s37, 0
	s_waitcnt lgkmcnt(0)
	s_barrier
	s_cbranch_execz .LBB50_20
.LBB50_6:                               ;   Parent Loop BB50_2 Depth=1
                                        ; =>  This Inner Loop Header: Depth=2
	v_mov_b64_e32 v[16:17], v[0:1]
	v_lshrrev_b64 v[0:1], s36, v[16:17]
	v_lshlrev_b32_e32 v1, 2, v0
	v_and_b32_e32 v8, 1, v0
	v_mov_b64_e32 v[14:15], v[2:3]
	v_and_b32_e32 v1, 0x3fc, v1
	v_lshl_add_u64 v[2:3], v[8:9], 0, -1
	v_cmp_ne_u32_e32 vcc, 0, v8
	v_add_u32_e32 v1, v1, v22
	v_mov_b64_e32 v[4:5], v[18:19]
	v_xor_b32_e32 v2, vcc_lo, v2
	v_lshl_add_u32 v18, v1, 2, 16
	v_xor_b32_e32 v1, vcc_hi, v3
	v_and_b32_e32 v8, exec_lo, v2
	v_lshlrev_b32_e32 v3, 30, v0
	v_mov_b32_e32 v2, v9
	v_cmp_gt_i64_e32 vcc, 0, v[2:3]
	v_not_b32_e32 v2, v3
	v_ashrrev_i32_e32 v2, 31, v2
	v_and_b32_e32 v1, exec_hi, v1
	v_xor_b32_e32 v3, vcc_hi, v2
	v_xor_b32_e32 v2, vcc_lo, v2
	v_and_b32_e32 v1, v1, v3
	v_and_b32_e32 v8, v8, v2
	v_lshlrev_b32_e32 v3, 29, v0
	v_mov_b32_e32 v2, v9
	v_cmp_gt_i64_e32 vcc, 0, v[2:3]
	v_not_b32_e32 v2, v3
	v_ashrrev_i32_e32 v2, 31, v2
	v_xor_b32_e32 v3, vcc_hi, v2
	v_xor_b32_e32 v2, vcc_lo, v2
	v_and_b32_e32 v1, v1, v3
	v_and_b32_e32 v8, v8, v2
	v_lshlrev_b32_e32 v3, 28, v0
	v_mov_b32_e32 v2, v9
	v_cmp_gt_i64_e32 vcc, 0, v[2:3]
	v_not_b32_e32 v2, v3
	v_ashrrev_i32_e32 v2, 31, v2
	;; [unrolled: 9-line block ×5, first 2 shown]
	v_xor_b32_e32 v3, vcc_hi, v2
	v_and_b32_e32 v3, v1, v3
	v_lshlrev_b32_e32 v1, 24, v0
	v_mov_b32_e32 v0, v9
	v_xor_b32_e32 v2, vcc_lo, v2
	v_cmp_gt_i64_e32 vcc, 0, v[0:1]
	v_not_b32_e32 v0, v1
	v_ashrrev_i32_e32 v0, 31, v0
	v_and_b32_e32 v2, v8, v2
	v_xor_b32_e32 v1, vcc_hi, v0
	v_xor_b32_e32 v0, vcc_lo, v0
	v_and_b32_e32 v0, v2, v0
	v_and_b32_e32 v1, v3, v1
	v_mbcnt_lo_u32_b32 v2, v0, 0
	v_mbcnt_hi_u32_b32 v19, v1, v2
	v_cmp_eq_u32_e32 vcc, 0, v19
	v_cmp_ne_u64_e64 s[30:31], 0, v[0:1]
	s_and_b64 s[40:41], s[30:31], vcc
	ds_write2_b64 v21, v[10:11], v[12:13] offset0:2 offset1:3
	s_waitcnt lgkmcnt(0)
	s_barrier
	s_waitcnt lgkmcnt(0)
	; wave barrier
	s_and_saveexec_b64 s[30:31], s[40:41]
	s_cbranch_execz .LBB50_8
; %bb.7:                                ;   in Loop: Header=BB50_6 Depth=2
	v_bcnt_u32_b32 v0, v0, 0
	v_bcnt_u32_b32 v0, v1, v0
	ds_write_b32 v18, v0
.LBB50_8:                               ;   in Loop: Header=BB50_6 Depth=2
	s_or_b64 exec, exec, s[30:31]
	v_lshrrev_b64 v[0:1], s36, v[14:15]
	v_lshlrev_b32_e32 v1, 2, v0
	v_and_b32_e32 v8, 1, v0
	v_and_b32_e32 v1, 0x3fc, v1
	v_lshl_add_u64 v[2:3], v[8:9], 0, -1
	v_cmp_ne_u32_e32 vcc, 0, v8
	v_add_lshl_u32 v1, v1, v22, 2
	s_nop 0
	v_xor_b32_e32 v2, vcc_lo, v2
	; wave barrier
	v_add_u32_e32 v37, 16, v1
	ds_read_b32 v36, v1 offset:16
	v_xor_b32_e32 v1, vcc_hi, v3
	v_and_b32_e32 v8, exec_lo, v2
	v_lshlrev_b32_e32 v3, 30, v0
	v_mov_b32_e32 v2, v9
	v_cmp_gt_i64_e32 vcc, 0, v[2:3]
	v_not_b32_e32 v2, v3
	v_ashrrev_i32_e32 v2, 31, v2
	v_and_b32_e32 v1, exec_hi, v1
	v_xor_b32_e32 v3, vcc_hi, v2
	v_xor_b32_e32 v2, vcc_lo, v2
	v_and_b32_e32 v1, v1, v3
	v_and_b32_e32 v8, v8, v2
	v_lshlrev_b32_e32 v3, 29, v0
	v_mov_b32_e32 v2, v9
	v_cmp_gt_i64_e32 vcc, 0, v[2:3]
	v_not_b32_e32 v2, v3
	v_ashrrev_i32_e32 v2, 31, v2
	v_xor_b32_e32 v3, vcc_hi, v2
	v_xor_b32_e32 v2, vcc_lo, v2
	v_and_b32_e32 v1, v1, v3
	v_and_b32_e32 v8, v8, v2
	v_lshlrev_b32_e32 v3, 28, v0
	v_mov_b32_e32 v2, v9
	v_cmp_gt_i64_e32 vcc, 0, v[2:3]
	v_not_b32_e32 v2, v3
	v_ashrrev_i32_e32 v2, 31, v2
	;; [unrolled: 9-line block ×5, first 2 shown]
	v_xor_b32_e32 v3, vcc_hi, v2
	v_and_b32_e32 v3, v1, v3
	v_lshlrev_b32_e32 v1, 24, v0
	v_mov_b32_e32 v0, v9
	v_xor_b32_e32 v2, vcc_lo, v2
	v_cmp_gt_i64_e32 vcc, 0, v[0:1]
	v_not_b32_e32 v0, v1
	v_ashrrev_i32_e32 v0, 31, v0
	v_and_b32_e32 v2, v8, v2
	v_xor_b32_e32 v1, vcc_hi, v0
	v_xor_b32_e32 v0, vcc_lo, v0
	v_and_b32_e32 v0, v2, v0
	v_and_b32_e32 v1, v3, v1
	v_mbcnt_lo_u32_b32 v2, v0, 0
	v_mbcnt_hi_u32_b32 v38, v1, v2
	v_cmp_eq_u32_e32 vcc, 0, v38
	v_cmp_ne_u64_e64 s[30:31], 0, v[0:1]
	s_and_b64 s[40:41], s[30:31], vcc
	; wave barrier
	s_and_saveexec_b64 s[30:31], s[40:41]
	s_cbranch_execz .LBB50_10
; %bb.9:                                ;   in Loop: Header=BB50_6 Depth=2
	v_bcnt_u32_b32 v0, v0, 0
	v_bcnt_u32_b32 v0, v1, v0
	s_waitcnt lgkmcnt(0)
	v_add_u32_e32 v0, v36, v0
	ds_write_b32 v37, v0
.LBB50_10:                              ;   in Loop: Header=BB50_6 Depth=2
	s_or_b64 exec, exec, s[30:31]
	v_lshrrev_b64 v[0:1], s36, v[4:5]
	v_lshlrev_b32_e32 v1, 2, v0
	v_and_b32_e32 v8, 1, v0
	v_and_b32_e32 v1, 0x3fc, v1
	v_lshl_add_u64 v[2:3], v[8:9], 0, -1
	v_cmp_ne_u32_e32 vcc, 0, v8
	v_add_lshl_u32 v1, v1, v22, 2
	s_nop 0
	v_xor_b32_e32 v2, vcc_lo, v2
	; wave barrier
	v_add_u32_e32 v40, 16, v1
	ds_read_b32 v39, v1 offset:16
	v_xor_b32_e32 v1, vcc_hi, v3
	v_and_b32_e32 v8, exec_lo, v2
	v_lshlrev_b32_e32 v3, 30, v0
	v_mov_b32_e32 v2, v9
	v_cmp_gt_i64_e32 vcc, 0, v[2:3]
	v_not_b32_e32 v2, v3
	v_ashrrev_i32_e32 v2, 31, v2
	v_and_b32_e32 v1, exec_hi, v1
	v_xor_b32_e32 v3, vcc_hi, v2
	v_xor_b32_e32 v2, vcc_lo, v2
	v_and_b32_e32 v1, v1, v3
	v_and_b32_e32 v8, v8, v2
	v_lshlrev_b32_e32 v3, 29, v0
	v_mov_b32_e32 v2, v9
	v_cmp_gt_i64_e32 vcc, 0, v[2:3]
	v_not_b32_e32 v2, v3
	v_ashrrev_i32_e32 v2, 31, v2
	v_xor_b32_e32 v3, vcc_hi, v2
	v_xor_b32_e32 v2, vcc_lo, v2
	v_and_b32_e32 v1, v1, v3
	v_and_b32_e32 v8, v8, v2
	v_lshlrev_b32_e32 v3, 28, v0
	v_mov_b32_e32 v2, v9
	v_cmp_gt_i64_e32 vcc, 0, v[2:3]
	v_not_b32_e32 v2, v3
	v_ashrrev_i32_e32 v2, 31, v2
	;; [unrolled: 9-line block ×5, first 2 shown]
	v_xor_b32_e32 v3, vcc_hi, v2
	v_and_b32_e32 v3, v1, v3
	v_lshlrev_b32_e32 v1, 24, v0
	v_mov_b32_e32 v0, v9
	v_xor_b32_e32 v2, vcc_lo, v2
	v_cmp_gt_i64_e32 vcc, 0, v[0:1]
	v_not_b32_e32 v0, v1
	v_ashrrev_i32_e32 v0, 31, v0
	v_and_b32_e32 v2, v8, v2
	v_xor_b32_e32 v1, vcc_hi, v0
	v_xor_b32_e32 v0, vcc_lo, v0
	v_and_b32_e32 v0, v2, v0
	v_and_b32_e32 v1, v3, v1
	v_mbcnt_lo_u32_b32 v2, v0, 0
	v_mbcnt_hi_u32_b32 v8, v1, v2
	v_cmp_eq_u32_e32 vcc, 0, v8
	v_cmp_ne_u64_e64 s[30:31], 0, v[0:1]
	s_and_b64 s[40:41], s[30:31], vcc
	; wave barrier
	s_and_saveexec_b64 s[30:31], s[40:41]
	s_cbranch_execz .LBB50_12
; %bb.11:                               ;   in Loop: Header=BB50_6 Depth=2
	v_bcnt_u32_b32 v0, v0, 0
	v_bcnt_u32_b32 v0, v1, v0
	s_waitcnt lgkmcnt(0)
	v_add_u32_e32 v0, v39, v0
	ds_write_b32 v40, v0
.LBB50_12:                              ;   in Loop: Header=BB50_6 Depth=2
	s_or_b64 exec, exec, s[30:31]
	; wave barrier
	s_waitcnt lgkmcnt(0)
	s_barrier
	ds_read2_b64 v[0:3], v21 offset0:2 offset1:3
	s_waitcnt lgkmcnt(0)
	v_add_u32_e32 v41, v1, v0
	v_add3_u32 v3, v41, v2, v3
	s_nop 1
	v_mov_b32_dpp v41, v3 row_shr:1 row_mask:0xf bank_mask:0xf
	v_cndmask_b32_e64 v41, v41, 0, s[2:3]
	v_add_u32_e32 v3, v41, v3
	s_nop 1
	v_mov_b32_dpp v41, v3 row_shr:2 row_mask:0xf bank_mask:0xf
	v_cndmask_b32_e64 v41, 0, v41, s[4:5]
	v_add_u32_e32 v3, v3, v41
	;; [unrolled: 4-line block ×4, first 2 shown]
	s_nop 1
	v_mov_b32_dpp v41, v3 row_bcast:15 row_mask:0xf bank_mask:0xf
	v_cndmask_b32_e64 v41, v41, 0, s[10:11]
	v_add_u32_e32 v3, v3, v41
	s_nop 1
	v_mov_b32_dpp v41, v3 row_bcast:31 row_mask:0xf bank_mask:0xf
	v_cndmask_b32_e64 v41, 0, v41, s[12:13]
	v_add_u32_e32 v3, v3, v41
	s_and_saveexec_b64 s[30:31], s[14:15]
	s_cbranch_execz .LBB50_14
; %bb.13:                               ;   in Loop: Header=BB50_6 Depth=2
	ds_write_b32 v25, v3
.LBB50_14:                              ;   in Loop: Header=BB50_6 Depth=2
	s_or_b64 exec, exec, s[30:31]
	s_waitcnt lgkmcnt(0)
	s_barrier
	s_and_saveexec_b64 s[30:31], s[16:17]
	s_cbranch_execz .LBB50_16
; %bb.15:                               ;   in Loop: Header=BB50_6 Depth=2
	ds_read_b32 v41, v26
	s_waitcnt lgkmcnt(0)
	s_nop 0
	v_mov_b32_dpp v42, v41 row_shr:1 row_mask:0xf bank_mask:0xf
	v_cndmask_b32_e64 v42, v42, 0, s[26:27]
	v_add_u32_e32 v41, v42, v41
	s_nop 1
	v_mov_b32_dpp v42, v41 row_shr:2 row_mask:0xf bank_mask:0xf
	v_cndmask_b32_e64 v42, 0, v42, s[28:29]
	v_add_u32_e32 v41, v41, v42
	ds_write_b32 v26, v41
.LBB50_16:                              ;   in Loop: Header=BB50_6 Depth=2
	s_or_b64 exec, exec, s[30:31]
	v_mov_b32_e32 v41, 0
	s_waitcnt lgkmcnt(0)
	s_barrier
	s_and_saveexec_b64 s[30:31], s[18:19]
	s_cbranch_execz .LBB50_18
; %bb.17:                               ;   in Loop: Header=BB50_6 Depth=2
	ds_read_b32 v41, v27
.LBB50_18:                              ;   in Loop: Header=BB50_6 Depth=2
	s_or_b64 exec, exec, s[30:31]
	s_waitcnt lgkmcnt(0)
	v_add_u32_e32 v3, v41, v3
	ds_bpermute_b32 v3, v23, v3
	s_cmp_gt_u32 s36, 55
	s_waitcnt lgkmcnt(0)
	v_cndmask_b32_e64 v3, v3, v41, s[20:21]
	v_cndmask_b32_e64 v42, v3, 0, s[22:23]
	v_add_u32_e32 v43, v42, v0
	v_add_u32_e32 v0, v43, v1
	;; [unrolled: 1-line block ×3, first 2 shown]
	ds_write2_b64 v21, v[42:43], v[0:1] offset0:2 offset1:3
	s_waitcnt lgkmcnt(0)
	s_barrier
	ds_read_b32 v0, v18
	ds_read_b32 v1, v37
	ds_read_b32 v2, v40
	s_waitcnt lgkmcnt(2)
	v_add_u32_e32 v37, v0, v19
	s_waitcnt lgkmcnt(1)
	v_add3_u32 v36, v38, v36, v1
	s_waitcnt lgkmcnt(0)
	v_add3_u32 v8, v8, v39, v2
	s_cbranch_scc0 .LBB50_5
; %bb.19:                               ;   in Loop: Header=BB50_2 Depth=1
                                        ; implicit-def: $vgpr18_vgpr19
                                        ; implicit-def: $vgpr2_vgpr3
                                        ; implicit-def: $sgpr36_sgpr37
.LBB50_20:                              ;   in Loop: Header=BB50_2 Depth=1
	v_lshlrev_b32_e32 v0, 3, v37
	s_barrier
	ds_write_b64 v0, v[16:17]
	v_lshlrev_b32_e32 v0, 3, v36
	ds_write_b64 v0, v[14:15]
	v_lshlrev_b32_e32 v0, 3, v8
	ds_write_b64 v0, v[4:5]
	s_waitcnt lgkmcnt(0)
	s_barrier
	ds_read_b64 v[14:15], v29
	ds_read2_b64 v[2:5], v29 offset0:1 offset1:2
	s_waitcnt lgkmcnt(0)
	s_barrier
	s_and_saveexec_b64 s[30:31], s[0:1]
	s_cbranch_execz .LBB50_22
; %bb.21:                               ;   in Loop: Header=BB50_2 Depth=1
	ds_write2st64_b32 v35, v34, v34 offset0:16 offset1:20
.LBB50_22:                              ;   in Loop: Header=BB50_2 Depth=1
	s_or_b64 exec, exec, s[30:31]
	v_cmp_ne_u32_e32 vcc, v2, v4
	v_lshlrev_b32_e32 v1, 2, v2
	s_waitcnt lgkmcnt(0)
	s_barrier
	ds_write_b64 v32, v[4:5]
	s_and_saveexec_b64 s[30:31], vcc
	s_cbranch_execz .LBB50_24
; %bb.23:                               ;   in Loop: Header=BB50_2 Depth=1
	v_lshlrev_b32_e32 v0, 2, v4
	ds_write_b32 v0, v31 offset:4096
	ds_write_b32 v1, v31 offset:5120
.LBB50_24:                              ;   in Loop: Header=BB50_2 Depth=1
	s_or_b64 exec, exec, s[30:31]
	v_cmp_ne_u32_e32 vcc, v2, v14
	v_lshlrev_b32_e32 v0, 2, v14
	s_and_saveexec_b64 s[30:31], vcc
	s_cbranch_execz .LBB50_26
; %bb.25:                               ;   in Loop: Header=BB50_2 Depth=1
	ds_write_b32 v1, v30 offset:4096
	ds_write_b32 v0, v30 offset:5120
.LBB50_26:                              ;   in Loop: Header=BB50_2 Depth=1
	s_or_b64 exec, exec, s[30:31]
	s_waitcnt lgkmcnt(0)
	s_barrier
	s_and_saveexec_b64 s[30:31], s[24:25]
	s_cbranch_execz .LBB50_29
; %bb.27:                               ;   in Loop: Header=BB50_2 Depth=1
	ds_read_b32 v1, v33
	s_waitcnt lgkmcnt(0)
	v_cmp_ne_u32_e32 vcc, v1, v14
	s_and_b64 exec, exec, vcc
	s_cbranch_execz .LBB50_29
; %bb.28:                               ;   in Loop: Header=BB50_2 Depth=1
	ds_write_b32 v0, v28 offset:4096
	ds_read_b32 v1, v33
	s_waitcnt lgkmcnt(0)
	v_lshlrev_b32_e32 v1, 2, v1
	ds_write_b32 v1, v28 offset:5120
.LBB50_29:                              ;   in Loop: Header=BB50_2 Depth=1
	s_or_b64 exec, exec, s[30:31]
	s_waitcnt lgkmcnt(0)
	s_barrier
	s_and_saveexec_b64 s[30:31], s[22:23]
	s_cbranch_execz .LBB50_31
; %bb.30:                               ;   in Loop: Header=BB50_2 Depth=1
	ds_write_b32 v0, v9 offset:4096
.LBB50_31:                              ;   in Loop: Header=BB50_2 Depth=1
	s_or_b64 exec, exec, s[30:31]
	s_waitcnt lgkmcnt(0)
	s_barrier
	s_and_saveexec_b64 s[30:31], s[0:1]
	s_cbranch_execz .LBB50_1
; %bb.32:                               ;   in Loop: Header=BB50_2 Depth=1
	ds_read2st64_b32 v[0:1], v35 offset0:16 offset1:20
	ds_read_b64 v[16:17], v24
	s_waitcnt lgkmcnt(1)
	v_sub_u32_e32 v8, v1, v0
	s_waitcnt lgkmcnt(0)
	v_lshl_add_u64 v[0:1], v[16:17], 0, v[8:9]
	ds_write_b64 v24, v[0:1]
	s_branch .LBB50_1
.LBB50_33:
	s_and_saveexec_b64 s[2:3], s[0:1]
	s_cbranch_execz .LBB50_35
; %bb.34:
	ds_read_b64 v[0:1], v24
	v_mov_b32_e32 v2, s38
	v_mov_b32_e32 v3, s39
	;; [unrolled: 1-line block ×3, first 2 shown]
	v_lshl_add_u64 v[2:3], v[6:7], 3, v[2:3]
	s_waitcnt lgkmcnt(0)
	global_store_dwordx2 v[2:3], v[0:1], off
.LBB50_35:
	s_endpgm
	.section	.rodata,"a",@progbits
	.p2align	6, 0x0
	.amdhsa_kernel _Z6kernelI9histogramILN6hipcub23BlockHistogramAlgorithmE1EEyLj256ELj3ELj256ELj100EEvPKT0_PS4_
		.amdhsa_group_segment_fixed_size 8192
		.amdhsa_private_segment_fixed_size 0
		.amdhsa_kernarg_size 272
		.amdhsa_user_sgpr_count 2
		.amdhsa_user_sgpr_dispatch_ptr 0
		.amdhsa_user_sgpr_queue_ptr 0
		.amdhsa_user_sgpr_kernarg_segment_ptr 1
		.amdhsa_user_sgpr_dispatch_id 0
		.amdhsa_user_sgpr_kernarg_preload_length 0
		.amdhsa_user_sgpr_kernarg_preload_offset 0
		.amdhsa_user_sgpr_private_segment_size 0
		.amdhsa_uses_dynamic_stack 0
		.amdhsa_enable_private_segment 0
		.amdhsa_system_sgpr_workgroup_id_x 1
		.amdhsa_system_sgpr_workgroup_id_y 0
		.amdhsa_system_sgpr_workgroup_id_z 0
		.amdhsa_system_sgpr_workgroup_info 0
		.amdhsa_system_vgpr_workitem_id 2
		.amdhsa_next_free_vgpr 44
		.amdhsa_next_free_sgpr 42
		.amdhsa_accum_offset 44
		.amdhsa_reserve_vcc 1
		.amdhsa_float_round_mode_32 0
		.amdhsa_float_round_mode_16_64 0
		.amdhsa_float_denorm_mode_32 3
		.amdhsa_float_denorm_mode_16_64 3
		.amdhsa_dx10_clamp 1
		.amdhsa_ieee_mode 1
		.amdhsa_fp16_overflow 0
		.amdhsa_tg_split 0
		.amdhsa_exception_fp_ieee_invalid_op 0
		.amdhsa_exception_fp_denorm_src 0
		.amdhsa_exception_fp_ieee_div_zero 0
		.amdhsa_exception_fp_ieee_overflow 0
		.amdhsa_exception_fp_ieee_underflow 0
		.amdhsa_exception_fp_ieee_inexact 0
		.amdhsa_exception_int_div_zero 0
	.end_amdhsa_kernel
	.section	.text._Z6kernelI9histogramILN6hipcub23BlockHistogramAlgorithmE1EEyLj256ELj3ELj256ELj100EEvPKT0_PS4_,"axG",@progbits,_Z6kernelI9histogramILN6hipcub23BlockHistogramAlgorithmE1EEyLj256ELj3ELj256ELj100EEvPKT0_PS4_,comdat
.Lfunc_end50:
	.size	_Z6kernelI9histogramILN6hipcub23BlockHistogramAlgorithmE1EEyLj256ELj3ELj256ELj100EEvPKT0_PS4_, .Lfunc_end50-_Z6kernelI9histogramILN6hipcub23BlockHistogramAlgorithmE1EEyLj256ELj3ELj256ELj100EEvPKT0_PS4_
                                        ; -- End function
	.section	.AMDGPU.csdata,"",@progbits
; Kernel info:
; codeLenInByte = 2768
; NumSgprs: 48
; NumVgprs: 44
; NumAgprs: 0
; TotalNumVgprs: 44
; ScratchSize: 0
; MemoryBound: 0
; FloatMode: 240
; IeeeMode: 1
; LDSByteSize: 8192 bytes/workgroup (compile time only)
; SGPRBlocks: 5
; VGPRBlocks: 5
; NumSGPRsForWavesPerEU: 48
; NumVGPRsForWavesPerEU: 44
; AccumOffset: 44
; Occupancy: 8
; WaveLimiterHint : 0
; COMPUTE_PGM_RSRC2:SCRATCH_EN: 0
; COMPUTE_PGM_RSRC2:USER_SGPR: 2
; COMPUTE_PGM_RSRC2:TRAP_HANDLER: 0
; COMPUTE_PGM_RSRC2:TGID_X_EN: 1
; COMPUTE_PGM_RSRC2:TGID_Y_EN: 0
; COMPUTE_PGM_RSRC2:TGID_Z_EN: 0
; COMPUTE_PGM_RSRC2:TIDIG_COMP_CNT: 2
; COMPUTE_PGM_RSRC3_GFX90A:ACCUM_OFFSET: 10
; COMPUTE_PGM_RSRC3_GFX90A:TG_SPLIT: 0
	.section	.text._Z6kernelI9histogramILN6hipcub23BlockHistogramAlgorithmE1EEyLj256ELj4ELj256ELj100EEvPKT0_PS4_,"axG",@progbits,_Z6kernelI9histogramILN6hipcub23BlockHistogramAlgorithmE1EEyLj256ELj4ELj256ELj100EEvPKT0_PS4_,comdat
	.protected	_Z6kernelI9histogramILN6hipcub23BlockHistogramAlgorithmE1EEyLj256ELj4ELj256ELj100EEvPKT0_PS4_ ; -- Begin function _Z6kernelI9histogramILN6hipcub23BlockHistogramAlgorithmE1EEyLj256ELj4ELj256ELj100EEvPKT0_PS4_
	.globl	_Z6kernelI9histogramILN6hipcub23BlockHistogramAlgorithmE1EEyLj256ELj4ELj256ELj100EEvPKT0_PS4_
	.p2align	8
	.type	_Z6kernelI9histogramILN6hipcub23BlockHistogramAlgorithmE1EEyLj256ELj4ELj256ELj100EEvPKT0_PS4_,@function
_Z6kernelI9histogramILN6hipcub23BlockHistogramAlgorithmE1EEyLj256ELj4ELj256ELj100EEvPKT0_PS4_: ; @_Z6kernelI9histogramILN6hipcub23BlockHistogramAlgorithmE1EEyLj256ELj4ELj256ELj100EEvPKT0_PS4_
; %bb.0:
	s_load_dwordx4 s[40:43], s[0:1], 0x0
	s_load_dword s3, s[0:1], 0x1c
	v_and_b32_e32 v14, 0x3ff, v0
	v_lshlrev_b32_e32 v15, 2, v14
	v_lshl_or_b32 v16, s2, 10, v15
	s_waitcnt lgkmcnt(0)
	v_mov_b32_e32 v2, s40
	v_mov_b32_e32 v3, s41
	;; [unrolled: 1-line block ×3, first 2 shown]
	v_lshl_add_u64 v[10:11], v[16:17], 3, v[2:3]
	global_load_dwordx4 v[2:5], v[10:11], off offset:16
	global_load_dwordx4 v[6:9], v[10:11], off
	v_mbcnt_lo_u32_b32 v1, -1, 0
	v_mbcnt_hi_u32_b32 v10, -1, v1
	v_lshrrev_b32_e32 v1, 2, v10
	v_and_b32_e32 v12, 64, v10
	v_or_b32_e32 v13, v1, v12
	v_add_u32_e32 v1, 48, v1
	v_and_or_b32 v1, v1, 63, v12
	v_lshlrev_b32_e32 v27, 2, v1
	s_lshr_b32 s10, s3, 16
	v_bfe_u32 v1, v0, 10, 10
	v_bfe_u32 v0, v0, 20, 10
	s_and_b32 s3, s3, 0xffff
	v_mad_u32_u24 v0, v0, s10, v1
	v_mad_u64_u32 v[0:1], s[10:11], v0, s3, v[14:15]
	v_lshrrev_b32_e32 v32, 6, v0
	v_and_b32_e32 v0, 15, v10
	v_cmp_eq_u32_e64 s[10:11], 0, v0
	v_cmp_lt_u32_e64 s[12:13], 1, v0
	v_cmp_lt_u32_e64 s[14:15], 3, v0
	;; [unrolled: 1-line block ×3, first 2 shown]
	v_and_b32_e32 v0, 16, v10
	v_cmp_eq_u32_e64 s[18:19], 0, v0
	v_or_b32_e32 v0, 63, v14
	v_cmp_eq_u32_e64 s[22:23], v0, v14
	v_add_u32_e32 v0, -1, v10
	v_cmp_lt_i32_e32 vcc, v0, v12
	v_lshlrev_b32_e32 v28, 4, v14
	s_movk_i32 s3, 0x300
	v_cndmask_b32_e32 v0, v0, v10, vcc
	v_lshlrev_b32_e32 v34, 2, v0
	v_lshrrev_b32_e32 v0, 4, v14
	v_and_b32_e32 v35, 12, v0
	v_mad_i32_i24 v36, v14, -12, v28
	v_and_or_b32 v0, v15, s3, v10
	s_mov_b32 s44, 0
	v_lshlrev_b32_e32 v38, 3, v0
	v_mad_u32_u24 v39, v14, 28, v36
	s_movk_i32 s3, 0xffe8
	v_mov_b32_e32 v0, 0x2000
	s_movk_i32 s0, 0x100
	v_and_b32_e32 v11, 3, v10
	v_lshlrev_b32_e32 v24, 2, v13
	v_mad_i32_i24 v40, v14, s3, v39
	v_lshl_or_b32 v33, v14, 3, v0
	v_sub_u32_e32 v0, 0, v15
	s_mov_b32 s45, s44
	s_mov_b32 s40, s44
	;; [unrolled: 1-line block ×3, first 2 shown]
	v_cmp_gt_u32_e64 s[0:1], s0, v14
	v_cmp_eq_u32_e64 s[38:39], 3, v11
	v_cmp_eq_u32_e64 s[4:5], 2, v11
	;; [unrolled: 1-line block ×4, first 2 shown]
	v_add_u32_e32 v25, 64, v24
	v_or_b32_e32 v26, 0x80, v24
	v_or_b32_e32 v29, 1, v15
	;; [unrolled: 1-line block ×4, first 2 shown]
	v_cmp_lt_u32_e64 s[20:21], 31, v10
	v_cmp_gt_u32_e64 s[24:25], 4, v14
	v_cmp_lt_u32_e64 s[26:27], 63, v14
	v_cmp_eq_u32_e64 s[28:29], 0, v10
	v_cmp_eq_u32_e64 s[30:31], 0, v14
	v_cmp_ne_u32_e64 s[34:35], 0, v14
	v_cmp_lt_u32_e64 s[36:37], 1, v11
	v_add_u32_e32 v37, -4, v35
	v_add_u32_e32 v41, -8, v40
	v_mov_b32_e32 v42, 0x400
	v_mov_b64_e32 v[18:19], s[44:45]
	v_mov_b64_e32 v[20:21], s[40:41]
	v_add_u32_e32 v43, v40, v0
	s_branch .LBB51_2
.LBB51_1:                               ;   in Loop: Header=BB51_2 Depth=1
	s_or_b64 exec, exec, s[40:41]
	s_add_i32 s44, s44, 1
	s_cmpk_eq_i32 s44, 0x64
	s_cbranch_scc1 .LBB51_37
.LBB51_2:                               ; =>This Loop Header: Depth=1
                                        ;     Child Loop BB51_6 Depth 2
	s_and_saveexec_b64 s[40:41], s[0:1]
	s_cbranch_execz .LBB51_4
; %bb.3:                                ;   in Loop: Header=BB51_2 Depth=1
	v_mov_b32_e32 v16, v17
	ds_write_b64 v33, v[16:17]
.LBB51_4:                               ;   in Loop: Header=BB51_2 Depth=1
	s_or_b64 exec, exec, s[40:41]
	s_waitcnt vmcnt(0)
	ds_bpermute_b32 v0, v24, v7
	ds_bpermute_b32 v1, v24, v9
	;; [unrolled: 1-line block ×6, first 2 shown]
	s_waitcnt lgkmcnt(4)
	v_cndmask_b32_e64 v0, v0, v1, s[6:7]
	ds_bpermute_b32 v1, v24, v2
	ds_bpermute_b32 v16, v24, v4
	s_waitcnt lgkmcnt(4)
	v_cndmask_b32_e64 v10, v10, v11, s[6:7]
	s_waitcnt lgkmcnt(3)
	v_cndmask_b32_e64 v0, v0, v12, s[4:5]
	;; [unrolled: 2-line block ×5, first 2 shown]
	ds_bpermute_b32 v0, v25, v7
	ds_bpermute_b32 v1, v25, v9
	ds_bpermute_b32 v22, v25, v3
	ds_bpermute_b32 v12, v25, v6
	ds_bpermute_b32 v13, v25, v8
	ds_bpermute_b32 v16, v25, v2
	s_waitcnt lgkmcnt(4)
	v_cndmask_b32_e64 v0, v0, v1, s[6:7]
	ds_bpermute_b32 v1, v25, v5
	s_waitcnt lgkmcnt(4)
	v_cndmask_b32_e64 v0, v0, v22, s[4:5]
	s_waitcnt lgkmcnt(2)
	v_cndmask_b32_e64 v12, v12, v13, s[6:7]
	;; [unrolled: 2-line block ×3, first 2 shown]
	ds_bpermute_b32 v16, v25, v4
	s_waitcnt lgkmcnt(1)
	v_cndmask_b32_e64 v13, v0, v1, s[38:39]
	ds_bpermute_b32 v0, v26, v7
	ds_bpermute_b32 v1, v26, v9
	;; [unrolled: 1-line block ×9, first 2 shown]
	s_waitcnt lgkmcnt(7)
	v_cndmask_b32_e64 v0, v0, v1, s[6:7]
	ds_bpermute_b32 v1, v26, v3
	ds_bpermute_b32 v2, v27, v2
	;; [unrolled: 1-line block ×3, first 2 shown]
	v_cndmask_b32_e64 v12, v12, v16, s[38:39]
	s_waitcnt lgkmcnt(8)
	v_cndmask_b32_e64 v16, v22, v23, s[6:7]
	ds_bpermute_b32 v22, v26, v5
	ds_bpermute_b32 v23, v26, v4
	;; [unrolled: 1-line block ×4, first 2 shown]
	s_waitcnt lgkmcnt(10)
	v_cndmask_b32_e64 v7, v7, v9, s[6:7]
	s_waitcnt lgkmcnt(8)
	v_cndmask_b32_e64 v6, v6, v8, s[6:7]
	;; [unrolled: 2-line block ×10, first 2 shown]
	s_mov_b64 s[46:47], 0
	s_barrier
	s_barrier
	s_branch .LBB51_6
.LBB51_5:                               ;   in Loop: Header=BB51_6 Depth=2
	v_lshlrev_b32_e32 v0, 3, v49
	s_barrier
	ds_write_b64 v0, v[22:23]
	v_lshlrev_b32_e32 v0, 3, v46
	ds_write_b64 v0, v[8:9]
	v_lshlrev_b32_e32 v0, 3, v44
	;; [unrolled: 2-line block ×3, first 2 shown]
	ds_write_b64 v0, v[4:5]
	s_waitcnt lgkmcnt(0)
	s_barrier
	ds_read2st64_b64 v[10:13], v38 offset1:1
	ds_read2st64_b64 v[0:3], v38 offset0:2 offset1:3
	s_add_u32 s46, s46, 8
	s_addc_u32 s47, s47, 0
	s_waitcnt lgkmcnt(0)
	s_barrier
	s_cbranch_execz .LBB51_22
.LBB51_6:                               ;   Parent Loop BB51_2 Depth=1
                                        ; =>  This Inner Loop Header: Depth=2
	v_mov_b64_e32 v[22:23], v[10:11]
	v_mov_b64_e32 v[6:7], v[0:1]
	v_lshrrev_b64 v[0:1], s46, v[22:23]
	v_lshlrev_b32_e32 v1, 2, v0
	v_and_b32_e32 v16, 1, v0
	v_mov_b64_e32 v[4:5], v[2:3]
	v_and_b32_e32 v1, 0x3fc, v1
	v_lshl_add_u64 v[2:3], v[16:17], 0, -1
	v_cmp_ne_u32_e32 vcc, 0, v16
	v_add_u32_e32 v1, v1, v32
	v_lshl_add_u32 v10, v1, 2, 16
	v_xor_b32_e32 v2, vcc_lo, v2
	v_xor_b32_e32 v1, vcc_hi, v3
	v_and_b32_e32 v11, exec_lo, v2
	v_lshlrev_b32_e32 v3, 30, v0
	v_mov_b32_e32 v2, v17
	v_cmp_gt_i64_e32 vcc, 0, v[2:3]
	v_not_b32_e32 v2, v3
	v_ashrrev_i32_e32 v2, 31, v2
	v_and_b32_e32 v1, exec_hi, v1
	v_xor_b32_e32 v3, vcc_hi, v2
	v_xor_b32_e32 v2, vcc_lo, v2
	v_and_b32_e32 v1, v1, v3
	v_and_b32_e32 v11, v11, v2
	v_lshlrev_b32_e32 v3, 29, v0
	v_mov_b32_e32 v2, v17
	v_cmp_gt_i64_e32 vcc, 0, v[2:3]
	v_not_b32_e32 v2, v3
	v_ashrrev_i32_e32 v2, 31, v2
	v_xor_b32_e32 v3, vcc_hi, v2
	v_xor_b32_e32 v2, vcc_lo, v2
	v_and_b32_e32 v1, v1, v3
	v_and_b32_e32 v11, v11, v2
	v_lshlrev_b32_e32 v3, 28, v0
	v_mov_b32_e32 v2, v17
	v_cmp_gt_i64_e32 vcc, 0, v[2:3]
	v_not_b32_e32 v2, v3
	v_ashrrev_i32_e32 v2, 31, v2
	;; [unrolled: 9-line block ×5, first 2 shown]
	v_xor_b32_e32 v3, vcc_hi, v2
	v_and_b32_e32 v3, v1, v3
	v_lshlrev_b32_e32 v1, 24, v0
	v_mov_b32_e32 v0, v17
	v_xor_b32_e32 v2, vcc_lo, v2
	v_cmp_gt_i64_e32 vcc, 0, v[0:1]
	v_not_b32_e32 v0, v1
	v_ashrrev_i32_e32 v0, 31, v0
	v_and_b32_e32 v2, v11, v2
	v_xor_b32_e32 v1, vcc_hi, v0
	v_xor_b32_e32 v0, vcc_lo, v0
	v_and_b32_e32 v0, v2, v0
	v_and_b32_e32 v1, v3, v1
	v_mbcnt_lo_u32_b32 v2, v0, 0
	v_mbcnt_hi_u32_b32 v11, v1, v2
	v_cmp_eq_u32_e32 vcc, 0, v11
	v_cmp_ne_u64_e64 s[40:41], 0, v[0:1]
	v_mov_b64_e32 v[8:9], v[12:13]
	s_and_b64 s[48:49], s[40:41], vcc
	ds_write2_b64 v28, v[18:19], v[20:21] offset0:2 offset1:3
	s_waitcnt lgkmcnt(0)
	s_barrier
	s_waitcnt lgkmcnt(0)
	; wave barrier
	s_and_saveexec_b64 s[40:41], s[48:49]
	s_cbranch_execz .LBB51_8
; %bb.7:                                ;   in Loop: Header=BB51_6 Depth=2
	v_bcnt_u32_b32 v0, v0, 0
	v_bcnt_u32_b32 v0, v1, v0
	ds_write_b32 v10, v0
.LBB51_8:                               ;   in Loop: Header=BB51_6 Depth=2
	s_or_b64 exec, exec, s[40:41]
	v_lshrrev_b64 v[0:1], s46, v[8:9]
	v_lshlrev_b32_e32 v1, 2, v0
	v_and_b32_e32 v16, 1, v0
	v_and_b32_e32 v1, 0x3fc, v1
	v_lshl_add_u64 v[2:3], v[16:17], 0, -1
	v_cmp_ne_u32_e32 vcc, 0, v16
	v_add_lshl_u32 v1, v1, v32, 2
	s_nop 0
	v_xor_b32_e32 v2, vcc_lo, v2
	; wave barrier
	v_add_u32_e32 v13, 16, v1
	ds_read_b32 v12, v1 offset:16
	v_xor_b32_e32 v1, vcc_hi, v3
	v_and_b32_e32 v16, exec_lo, v2
	v_lshlrev_b32_e32 v3, 30, v0
	v_mov_b32_e32 v2, v17
	v_cmp_gt_i64_e32 vcc, 0, v[2:3]
	v_not_b32_e32 v2, v3
	v_ashrrev_i32_e32 v2, 31, v2
	v_and_b32_e32 v1, exec_hi, v1
	v_xor_b32_e32 v3, vcc_hi, v2
	v_xor_b32_e32 v2, vcc_lo, v2
	v_and_b32_e32 v1, v1, v3
	v_and_b32_e32 v16, v16, v2
	v_lshlrev_b32_e32 v3, 29, v0
	v_mov_b32_e32 v2, v17
	v_cmp_gt_i64_e32 vcc, 0, v[2:3]
	v_not_b32_e32 v2, v3
	v_ashrrev_i32_e32 v2, 31, v2
	v_xor_b32_e32 v3, vcc_hi, v2
	v_xor_b32_e32 v2, vcc_lo, v2
	v_and_b32_e32 v1, v1, v3
	v_and_b32_e32 v16, v16, v2
	v_lshlrev_b32_e32 v3, 28, v0
	v_mov_b32_e32 v2, v17
	v_cmp_gt_i64_e32 vcc, 0, v[2:3]
	v_not_b32_e32 v2, v3
	v_ashrrev_i32_e32 v2, 31, v2
	;; [unrolled: 9-line block ×5, first 2 shown]
	v_xor_b32_e32 v3, vcc_hi, v2
	v_and_b32_e32 v3, v1, v3
	v_lshlrev_b32_e32 v1, 24, v0
	v_mov_b32_e32 v0, v17
	v_xor_b32_e32 v2, vcc_lo, v2
	v_cmp_gt_i64_e32 vcc, 0, v[0:1]
	v_not_b32_e32 v0, v1
	v_ashrrev_i32_e32 v0, 31, v0
	v_and_b32_e32 v2, v16, v2
	v_xor_b32_e32 v1, vcc_hi, v0
	v_xor_b32_e32 v0, vcc_lo, v0
	v_and_b32_e32 v0, v2, v0
	v_and_b32_e32 v1, v3, v1
	v_mbcnt_lo_u32_b32 v2, v0, 0
	v_mbcnt_hi_u32_b32 v44, v1, v2
	v_cmp_eq_u32_e32 vcc, 0, v44
	v_cmp_ne_u64_e64 s[40:41], 0, v[0:1]
	s_and_b64 s[48:49], s[40:41], vcc
	; wave barrier
	s_and_saveexec_b64 s[40:41], s[48:49]
	s_cbranch_execz .LBB51_10
; %bb.9:                                ;   in Loop: Header=BB51_6 Depth=2
	v_bcnt_u32_b32 v0, v0, 0
	v_bcnt_u32_b32 v0, v1, v0
	s_waitcnt lgkmcnt(0)
	v_add_u32_e32 v0, v12, v0
	ds_write_b32 v13, v0
.LBB51_10:                              ;   in Loop: Header=BB51_6 Depth=2
	s_or_b64 exec, exec, s[40:41]
	v_lshrrev_b64 v[0:1], s46, v[6:7]
	v_lshlrev_b32_e32 v1, 2, v0
	v_and_b32_e32 v16, 1, v0
	v_and_b32_e32 v1, 0x3fc, v1
	v_lshl_add_u64 v[2:3], v[16:17], 0, -1
	v_cmp_ne_u32_e32 vcc, 0, v16
	v_add_lshl_u32 v1, v1, v32, 2
	s_nop 0
	v_xor_b32_e32 v2, vcc_lo, v2
	; wave barrier
	v_add_u32_e32 v46, 16, v1
	ds_read_b32 v45, v1 offset:16
	v_xor_b32_e32 v1, vcc_hi, v3
	v_and_b32_e32 v16, exec_lo, v2
	v_lshlrev_b32_e32 v3, 30, v0
	v_mov_b32_e32 v2, v17
	v_cmp_gt_i64_e32 vcc, 0, v[2:3]
	v_not_b32_e32 v2, v3
	v_ashrrev_i32_e32 v2, 31, v2
	v_and_b32_e32 v1, exec_hi, v1
	v_xor_b32_e32 v3, vcc_hi, v2
	v_xor_b32_e32 v2, vcc_lo, v2
	v_and_b32_e32 v1, v1, v3
	v_and_b32_e32 v16, v16, v2
	v_lshlrev_b32_e32 v3, 29, v0
	v_mov_b32_e32 v2, v17
	v_cmp_gt_i64_e32 vcc, 0, v[2:3]
	v_not_b32_e32 v2, v3
	v_ashrrev_i32_e32 v2, 31, v2
	v_xor_b32_e32 v3, vcc_hi, v2
	v_xor_b32_e32 v2, vcc_lo, v2
	v_and_b32_e32 v1, v1, v3
	v_and_b32_e32 v16, v16, v2
	v_lshlrev_b32_e32 v3, 28, v0
	v_mov_b32_e32 v2, v17
	v_cmp_gt_i64_e32 vcc, 0, v[2:3]
	v_not_b32_e32 v2, v3
	v_ashrrev_i32_e32 v2, 31, v2
	;; [unrolled: 9-line block ×5, first 2 shown]
	v_xor_b32_e32 v3, vcc_hi, v2
	v_and_b32_e32 v3, v1, v3
	v_lshlrev_b32_e32 v1, 24, v0
	v_mov_b32_e32 v0, v17
	v_xor_b32_e32 v2, vcc_lo, v2
	v_cmp_gt_i64_e32 vcc, 0, v[0:1]
	v_not_b32_e32 v0, v1
	v_ashrrev_i32_e32 v0, 31, v0
	v_and_b32_e32 v2, v16, v2
	v_xor_b32_e32 v1, vcc_hi, v0
	v_xor_b32_e32 v0, vcc_lo, v0
	v_and_b32_e32 v0, v2, v0
	v_and_b32_e32 v1, v3, v1
	v_mbcnt_lo_u32_b32 v2, v0, 0
	v_mbcnt_hi_u32_b32 v47, v1, v2
	v_cmp_eq_u32_e32 vcc, 0, v47
	v_cmp_ne_u64_e64 s[40:41], 0, v[0:1]
	s_and_b64 s[48:49], s[40:41], vcc
	; wave barrier
	s_and_saveexec_b64 s[40:41], s[48:49]
	s_cbranch_execz .LBB51_12
; %bb.11:                               ;   in Loop: Header=BB51_6 Depth=2
	v_bcnt_u32_b32 v0, v0, 0
	v_bcnt_u32_b32 v0, v1, v0
	s_waitcnt lgkmcnt(0)
	v_add_u32_e32 v0, v45, v0
	ds_write_b32 v46, v0
.LBB51_12:                              ;   in Loop: Header=BB51_6 Depth=2
	s_or_b64 exec, exec, s[40:41]
	v_lshrrev_b64 v[0:1], s46, v[4:5]
	v_lshlrev_b32_e32 v1, 2, v0
	v_and_b32_e32 v16, 1, v0
	v_and_b32_e32 v1, 0x3fc, v1
	v_lshl_add_u64 v[2:3], v[16:17], 0, -1
	v_cmp_ne_u32_e32 vcc, 0, v16
	v_add_lshl_u32 v1, v1, v32, 2
	s_nop 0
	v_xor_b32_e32 v2, vcc_lo, v2
	; wave barrier
	v_add_u32_e32 v49, 16, v1
	ds_read_b32 v48, v1 offset:16
	v_xor_b32_e32 v1, vcc_hi, v3
	v_and_b32_e32 v16, exec_lo, v2
	v_lshlrev_b32_e32 v3, 30, v0
	v_mov_b32_e32 v2, v17
	v_cmp_gt_i64_e32 vcc, 0, v[2:3]
	v_not_b32_e32 v2, v3
	v_ashrrev_i32_e32 v2, 31, v2
	v_and_b32_e32 v1, exec_hi, v1
	v_xor_b32_e32 v3, vcc_hi, v2
	v_xor_b32_e32 v2, vcc_lo, v2
	v_and_b32_e32 v1, v1, v3
	v_and_b32_e32 v16, v16, v2
	v_lshlrev_b32_e32 v3, 29, v0
	v_mov_b32_e32 v2, v17
	v_cmp_gt_i64_e32 vcc, 0, v[2:3]
	v_not_b32_e32 v2, v3
	v_ashrrev_i32_e32 v2, 31, v2
	v_xor_b32_e32 v3, vcc_hi, v2
	v_xor_b32_e32 v2, vcc_lo, v2
	v_and_b32_e32 v1, v1, v3
	v_and_b32_e32 v16, v16, v2
	v_lshlrev_b32_e32 v3, 28, v0
	v_mov_b32_e32 v2, v17
	v_cmp_gt_i64_e32 vcc, 0, v[2:3]
	v_not_b32_e32 v2, v3
	v_ashrrev_i32_e32 v2, 31, v2
	;; [unrolled: 9-line block ×5, first 2 shown]
	v_xor_b32_e32 v3, vcc_hi, v2
	v_and_b32_e32 v3, v1, v3
	v_lshlrev_b32_e32 v1, 24, v0
	v_mov_b32_e32 v0, v17
	v_xor_b32_e32 v2, vcc_lo, v2
	v_cmp_gt_i64_e32 vcc, 0, v[0:1]
	v_not_b32_e32 v0, v1
	v_ashrrev_i32_e32 v0, 31, v0
	v_and_b32_e32 v2, v16, v2
	v_xor_b32_e32 v1, vcc_hi, v0
	v_xor_b32_e32 v0, vcc_lo, v0
	v_and_b32_e32 v0, v2, v0
	v_and_b32_e32 v1, v3, v1
	v_mbcnt_lo_u32_b32 v2, v0, 0
	v_mbcnt_hi_u32_b32 v16, v1, v2
	v_cmp_eq_u32_e32 vcc, 0, v16
	v_cmp_ne_u64_e64 s[40:41], 0, v[0:1]
	s_and_b64 s[48:49], s[40:41], vcc
	; wave barrier
	s_and_saveexec_b64 s[40:41], s[48:49]
	s_cbranch_execz .LBB51_14
; %bb.13:                               ;   in Loop: Header=BB51_6 Depth=2
	v_bcnt_u32_b32 v0, v0, 0
	v_bcnt_u32_b32 v0, v1, v0
	s_waitcnt lgkmcnt(0)
	v_add_u32_e32 v0, v48, v0
	ds_write_b32 v49, v0
.LBB51_14:                              ;   in Loop: Header=BB51_6 Depth=2
	s_or_b64 exec, exec, s[40:41]
	; wave barrier
	s_waitcnt lgkmcnt(0)
	s_barrier
	ds_read2_b64 v[0:3], v28 offset0:2 offset1:3
	s_waitcnt lgkmcnt(0)
	v_add_u32_e32 v50, v1, v0
	v_add3_u32 v3, v50, v2, v3
	s_nop 1
	v_mov_b32_dpp v50, v3 row_shr:1 row_mask:0xf bank_mask:0xf
	v_cndmask_b32_e64 v50, v50, 0, s[10:11]
	v_add_u32_e32 v3, v50, v3
	s_nop 1
	v_mov_b32_dpp v50, v3 row_shr:2 row_mask:0xf bank_mask:0xf
	v_cndmask_b32_e64 v50, 0, v50, s[12:13]
	v_add_u32_e32 v3, v3, v50
	;; [unrolled: 4-line block ×4, first 2 shown]
	s_nop 1
	v_mov_b32_dpp v50, v3 row_bcast:15 row_mask:0xf bank_mask:0xf
	v_cndmask_b32_e64 v50, v50, 0, s[18:19]
	v_add_u32_e32 v3, v3, v50
	s_nop 1
	v_mov_b32_dpp v50, v3 row_bcast:31 row_mask:0xf bank_mask:0xf
	v_cndmask_b32_e64 v50, 0, v50, s[20:21]
	v_add_u32_e32 v3, v3, v50
	s_and_saveexec_b64 s[40:41], s[22:23]
	s_cbranch_execz .LBB51_16
; %bb.15:                               ;   in Loop: Header=BB51_6 Depth=2
	ds_write_b32 v35, v3
.LBB51_16:                              ;   in Loop: Header=BB51_6 Depth=2
	s_or_b64 exec, exec, s[40:41]
	s_waitcnt lgkmcnt(0)
	s_barrier
	s_and_saveexec_b64 s[40:41], s[24:25]
	s_cbranch_execz .LBB51_18
; %bb.17:                               ;   in Loop: Header=BB51_6 Depth=2
	ds_read_b32 v50, v36
	s_waitcnt lgkmcnt(0)
	s_nop 0
	v_mov_b32_dpp v51, v50 row_shr:1 row_mask:0xf bank_mask:0xf
	v_cndmask_b32_e64 v51, v51, 0, s[8:9]
	v_add_u32_e32 v50, v51, v50
	s_nop 1
	v_mov_b32_dpp v51, v50 row_shr:2 row_mask:0xf bank_mask:0xf
	v_cndmask_b32_e64 v51, 0, v51, s[36:37]
	v_add_u32_e32 v50, v50, v51
	ds_write_b32 v36, v50
.LBB51_18:                              ;   in Loop: Header=BB51_6 Depth=2
	s_or_b64 exec, exec, s[40:41]
	v_mov_b32_e32 v50, 0
	s_waitcnt lgkmcnt(0)
	s_barrier
	s_and_saveexec_b64 s[40:41], s[26:27]
	s_cbranch_execz .LBB51_20
; %bb.19:                               ;   in Loop: Header=BB51_6 Depth=2
	ds_read_b32 v50, v37
.LBB51_20:                              ;   in Loop: Header=BB51_6 Depth=2
	s_or_b64 exec, exec, s[40:41]
	s_waitcnt lgkmcnt(0)
	v_add_u32_e32 v3, v50, v3
	ds_bpermute_b32 v3, v34, v3
	s_cmp_gt_u32 s46, 55
	s_waitcnt lgkmcnt(0)
	v_cndmask_b32_e64 v3, v3, v50, s[28:29]
	v_cndmask_b32_e64 v50, v3, 0, s[30:31]
	v_add_u32_e32 v51, v50, v0
	v_add_u32_e32 v0, v51, v1
	;; [unrolled: 1-line block ×3, first 2 shown]
	ds_write2_b64 v28, v[50:51], v[0:1] offset0:2 offset1:3
	s_waitcnt lgkmcnt(0)
	s_barrier
	ds_read_b32 v0, v10
	ds_read_b32 v1, v13
	;; [unrolled: 1-line block ×4, first 2 shown]
	s_waitcnt lgkmcnt(3)
	v_add_u32_e32 v49, v0, v11
	s_waitcnt lgkmcnt(2)
	v_add3_u32 v46, v44, v12, v1
	s_waitcnt lgkmcnt(1)
	v_add3_u32 v44, v47, v45, v2
	;; [unrolled: 2-line block ×3, first 2 shown]
	s_cbranch_scc0 .LBB51_5
; %bb.21:                               ;   in Loop: Header=BB51_2 Depth=1
                                        ; implicit-def: $vgpr10_vgpr11
                                        ; implicit-def: $vgpr0_vgpr1
                                        ; implicit-def: $sgpr46_sgpr47
.LBB51_22:                              ;   in Loop: Header=BB51_2 Depth=1
	v_lshlrev_b32_e32 v0, 3, v49
	s_barrier
	ds_write_b64 v0, v[22:23]
	v_lshlrev_b32_e32 v0, 3, v46
	ds_write_b64 v0, v[8:9]
	v_lshlrev_b32_e32 v0, 3, v44
	;; [unrolled: 2-line block ×3, first 2 shown]
	ds_write_b64 v0, v[4:5]
	s_waitcnt lgkmcnt(0)
	s_barrier
	ds_read2_b64 v[6:9], v39 offset1:1
	ds_read2_b64 v[2:5], v39 offset0:2 offset1:3
	s_waitcnt lgkmcnt(0)
	s_barrier
	s_and_saveexec_b64 s[40:41], s[0:1]
	s_cbranch_execz .LBB51_24
; %bb.23:                               ;   in Loop: Header=BB51_2 Depth=1
	ds_write2st64_b32 v43, v42, v42 offset0:16 offset1:20
.LBB51_24:                              ;   in Loop: Header=BB51_2 Depth=1
	s_or_b64 exec, exec, s[40:41]
	v_cmp_ne_u32_e32 vcc, v2, v4
	v_lshlrev_b32_e32 v0, 2, v2
	s_waitcnt lgkmcnt(0)
	s_barrier
	ds_write_b64 v40, v[4:5]
	s_and_saveexec_b64 s[40:41], vcc
	s_cbranch_execz .LBB51_26
; %bb.25:                               ;   in Loop: Header=BB51_2 Depth=1
	v_lshlrev_b32_e32 v1, 2, v4
	ds_write_b32 v1, v31 offset:4096
	ds_write_b32 v0, v31 offset:5120
.LBB51_26:                              ;   in Loop: Header=BB51_2 Depth=1
	s_or_b64 exec, exec, s[40:41]
	v_cmp_ne_u32_e32 vcc, v2, v8
	v_lshlrev_b32_e32 v1, 2, v8
	v_mov_b32_e32 v10, v2
	s_and_saveexec_b64 s[40:41], vcc
	s_cbranch_execz .LBB51_28
; %bb.27:                               ;   in Loop: Header=BB51_2 Depth=1
	v_mov_b32_e32 v10, v8
	ds_write_b32 v0, v30 offset:4096
	ds_write_b32 v1, v30 offset:5120
.LBB51_28:                              ;   in Loop: Header=BB51_2 Depth=1
	s_or_b64 exec, exec, s[40:41]
	v_cmp_ne_u32_e32 vcc, v10, v6
	v_lshlrev_b32_e32 v0, 2, v6
	s_and_saveexec_b64 s[40:41], vcc
	s_cbranch_execz .LBB51_30
; %bb.29:                               ;   in Loop: Header=BB51_2 Depth=1
	ds_write_b32 v1, v29 offset:4096
	ds_write_b32 v0, v29 offset:5120
.LBB51_30:                              ;   in Loop: Header=BB51_2 Depth=1
	s_or_b64 exec, exec, s[40:41]
	s_waitcnt lgkmcnt(0)
	s_barrier
	s_and_saveexec_b64 s[40:41], s[34:35]
	s_cbranch_execz .LBB51_33
; %bb.31:                               ;   in Loop: Header=BB51_2 Depth=1
	ds_read_b32 v1, v41
	s_waitcnt lgkmcnt(0)
	v_cmp_ne_u32_e32 vcc, v1, v6
	s_and_b64 exec, exec, vcc
	s_cbranch_execz .LBB51_33
; %bb.32:                               ;   in Loop: Header=BB51_2 Depth=1
	ds_write_b32 v0, v15 offset:4096
	ds_read_b32 v1, v41
	s_waitcnt lgkmcnt(0)
	v_lshlrev_b32_e32 v1, 2, v1
	ds_write_b32 v1, v15 offset:5120
.LBB51_33:                              ;   in Loop: Header=BB51_2 Depth=1
	s_or_b64 exec, exec, s[40:41]
	s_waitcnt lgkmcnt(0)
	s_barrier
	s_and_saveexec_b64 s[40:41], s[30:31]
	s_cbranch_execz .LBB51_35
; %bb.34:                               ;   in Loop: Header=BB51_2 Depth=1
	ds_write_b32 v0, v17 offset:4096
.LBB51_35:                              ;   in Loop: Header=BB51_2 Depth=1
	s_or_b64 exec, exec, s[40:41]
	s_waitcnt lgkmcnt(0)
	s_barrier
	s_and_saveexec_b64 s[40:41], s[0:1]
	s_cbranch_execz .LBB51_1
; %bb.36:                               ;   in Loop: Header=BB51_2 Depth=1
	ds_read2st64_b32 v[0:1], v43 offset0:16 offset1:20
	ds_read_b64 v[10:11], v33
	s_waitcnt lgkmcnt(1)
	v_sub_u32_e32 v16, v1, v0
	s_waitcnt lgkmcnt(0)
	v_lshl_add_u64 v[0:1], v[10:11], 0, v[16:17]
	ds_write_b64 v33, v[0:1]
	s_branch .LBB51_1
.LBB51_37:
	s_and_saveexec_b64 s[4:5], s[0:1]
	s_cbranch_execz .LBB51_39
; %bb.38:
	ds_read_b64 v[2:3], v33
	v_mov_b32_e32 v0, s42
	v_mov_b32_e32 v1, s43
	v_lshl_or_b32 v4, s2, 8, v14
	v_mov_b32_e32 v5, 0
	v_lshl_add_u64 v[0:1], v[4:5], 3, v[0:1]
	s_waitcnt lgkmcnt(0)
	global_store_dwordx2 v[0:1], v[2:3], off
.LBB51_39:
	s_endpgm
	.section	.rodata,"a",@progbits
	.p2align	6, 0x0
	.amdhsa_kernel _Z6kernelI9histogramILN6hipcub23BlockHistogramAlgorithmE1EEyLj256ELj4ELj256ELj100EEvPKT0_PS4_
		.amdhsa_group_segment_fixed_size 10240
		.amdhsa_private_segment_fixed_size 0
		.amdhsa_kernarg_size 272
		.amdhsa_user_sgpr_count 2
		.amdhsa_user_sgpr_dispatch_ptr 0
		.amdhsa_user_sgpr_queue_ptr 0
		.amdhsa_user_sgpr_kernarg_segment_ptr 1
		.amdhsa_user_sgpr_dispatch_id 0
		.amdhsa_user_sgpr_kernarg_preload_length 0
		.amdhsa_user_sgpr_kernarg_preload_offset 0
		.amdhsa_user_sgpr_private_segment_size 0
		.amdhsa_uses_dynamic_stack 0
		.amdhsa_enable_private_segment 0
		.amdhsa_system_sgpr_workgroup_id_x 1
		.amdhsa_system_sgpr_workgroup_id_y 0
		.amdhsa_system_sgpr_workgroup_id_z 0
		.amdhsa_system_sgpr_workgroup_info 0
		.amdhsa_system_vgpr_workitem_id 2
		.amdhsa_next_free_vgpr 52
		.amdhsa_next_free_sgpr 50
		.amdhsa_accum_offset 52
		.amdhsa_reserve_vcc 1
		.amdhsa_float_round_mode_32 0
		.amdhsa_float_round_mode_16_64 0
		.amdhsa_float_denorm_mode_32 3
		.amdhsa_float_denorm_mode_16_64 3
		.amdhsa_dx10_clamp 1
		.amdhsa_ieee_mode 1
		.amdhsa_fp16_overflow 0
		.amdhsa_tg_split 0
		.amdhsa_exception_fp_ieee_invalid_op 0
		.amdhsa_exception_fp_denorm_src 0
		.amdhsa_exception_fp_ieee_div_zero 0
		.amdhsa_exception_fp_ieee_overflow 0
		.amdhsa_exception_fp_ieee_underflow 0
		.amdhsa_exception_fp_ieee_inexact 0
		.amdhsa_exception_int_div_zero 0
	.end_amdhsa_kernel
	.section	.text._Z6kernelI9histogramILN6hipcub23BlockHistogramAlgorithmE1EEyLj256ELj4ELj256ELj100EEvPKT0_PS4_,"axG",@progbits,_Z6kernelI9histogramILN6hipcub23BlockHistogramAlgorithmE1EEyLj256ELj4ELj256ELj100EEvPKT0_PS4_,comdat
.Lfunc_end51:
	.size	_Z6kernelI9histogramILN6hipcub23BlockHistogramAlgorithmE1EEyLj256ELj4ELj256ELj100EEvPKT0_PS4_, .Lfunc_end51-_Z6kernelI9histogramILN6hipcub23BlockHistogramAlgorithmE1EEyLj256ELj4ELj256ELj100EEvPKT0_PS4_
                                        ; -- End function
	.section	.AMDGPU.csdata,"",@progbits
; Kernel info:
; codeLenInByte = 3760
; NumSgprs: 56
; NumVgprs: 52
; NumAgprs: 0
; TotalNumVgprs: 52
; ScratchSize: 0
; MemoryBound: 0
; FloatMode: 240
; IeeeMode: 1
; LDSByteSize: 10240 bytes/workgroup (compile time only)
; SGPRBlocks: 6
; VGPRBlocks: 6
; NumSGPRsForWavesPerEU: 56
; NumVGPRsForWavesPerEU: 52
; AccumOffset: 52
; Occupancy: 6
; WaveLimiterHint : 0
; COMPUTE_PGM_RSRC2:SCRATCH_EN: 0
; COMPUTE_PGM_RSRC2:USER_SGPR: 2
; COMPUTE_PGM_RSRC2:TRAP_HANDLER: 0
; COMPUTE_PGM_RSRC2:TGID_X_EN: 1
; COMPUTE_PGM_RSRC2:TGID_Y_EN: 0
; COMPUTE_PGM_RSRC2:TGID_Z_EN: 0
; COMPUTE_PGM_RSRC2:TIDIG_COMP_CNT: 2
; COMPUTE_PGM_RSRC3_GFX90A:ACCUM_OFFSET: 12
; COMPUTE_PGM_RSRC3_GFX90A:TG_SPLIT: 0
	.section	.text._Z6kernelI9histogramILN6hipcub23BlockHistogramAlgorithmE1EEyLj256ELj8ELj256ELj100EEvPKT0_PS4_,"axG",@progbits,_Z6kernelI9histogramILN6hipcub23BlockHistogramAlgorithmE1EEyLj256ELj8ELj256ELj100EEvPKT0_PS4_,comdat
	.protected	_Z6kernelI9histogramILN6hipcub23BlockHistogramAlgorithmE1EEyLj256ELj8ELj256ELj100EEvPKT0_PS4_ ; -- Begin function _Z6kernelI9histogramILN6hipcub23BlockHistogramAlgorithmE1EEyLj256ELj8ELj256ELj100EEvPKT0_PS4_
	.globl	_Z6kernelI9histogramILN6hipcub23BlockHistogramAlgorithmE1EEyLj256ELj8ELj256ELj100EEvPKT0_PS4_
	.p2align	8
	.type	_Z6kernelI9histogramILN6hipcub23BlockHistogramAlgorithmE1EEyLj256ELj8ELj256ELj100EEvPKT0_PS4_,@function
_Z6kernelI9histogramILN6hipcub23BlockHistogramAlgorithmE1EEyLj256ELj8ELj256ELj100EEvPKT0_PS4_: ; @_Z6kernelI9histogramILN6hipcub23BlockHistogramAlgorithmE1EEyLj256ELj8ELj256ELj100EEvPKT0_PS4_
; %bb.0:
	s_load_dwordx4 s[36:39], s[0:1], 0x0
	s_load_dword s3, s[0:1], 0x1c
	v_and_b32_e32 v18, 0x3ff, v0
	v_lshlrev_b32_e32 v19, 3, v18
	v_lshl_or_b32 v20, s2, 11, v19
	s_waitcnt lgkmcnt(0)
	v_mov_b32_e32 v2, s36
	v_mov_b32_e32 v3, s37
	;; [unrolled: 1-line block ×3, first 2 shown]
	v_lshl_add_u64 v[22:23], v[20:21], 3, v[2:3]
	global_load_dwordx4 v[2:5], v[22:23], off offset:48
	global_load_dwordx4 v[6:9], v[22:23], off offset:32
	;; [unrolled: 1-line block ×3, first 2 shown]
	global_load_dwordx4 v[14:17], v[22:23], off
	v_mbcnt_lo_u32_b32 v1, -1, 0
	v_mbcnt_hi_u32_b32 v20, -1, v1
	s_movk_i32 s4, 0x600
	v_and_or_b32 v1, v19, s4, v20
	v_lshlrev_b32_e32 v41, 3, v1
	s_lshr_b32 s4, s3, 16
	v_bfe_u32 v1, v0, 10, 10
	v_bfe_u32 v0, v0, 20, 10
	s_and_b32 s3, s3, 0xffff
	v_mad_u32_u24 v0, v0, s4, v1
	v_mad_u64_u32 v[0:1], s[4:5], v0, s3, v[18:19]
	v_lshrrev_b32_e32 v43, 6, v0
	v_and_b32_e32 v0, 15, v20
	v_and_b32_e32 v22, 0xc0, v18
	v_cmp_eq_u32_e64 s[30:31], 0, v0
	v_cmp_lt_u32_e64 s[4:5], 1, v0
	v_cmp_lt_u32_e64 s[6:7], 3, v0
	;; [unrolled: 1-line block ×3, first 2 shown]
	v_and_b32_e32 v0, 16, v20
	v_cmp_eq_u32_e64 s[10:11], 0, v0
	v_or_b32_e32 v0, 63, v22
	v_add_lshl_u32 v40, v20, v22, 6
	v_cmp_eq_u32_e64 s[14:15], v0, v18
	v_add_u32_e32 v0, -1, v20
	v_and_b32_e32 v22, 64, v20
	v_cmp_lt_i32_e32 vcc, v0, v22
	v_lshlrev_b32_e32 v42, 4, v18
	v_mad_i32_i24 v47, v18, -12, v42
	v_cndmask_b32_e32 v0, v0, v20, vcc
	v_lshlrev_b32_e32 v44, 2, v0
	v_lshrrev_b32_e32 v0, 4, v18
	s_mov_b32 s36, 0
	v_lshlrev_b32_e32 v1, 2, v18
	v_and_b32_e32 v46, 12, v0
	v_and_b32_e32 v0, 3, v20
	v_mad_u32_u24 v49, v18, 60, v47
	s_movk_i32 s3, 0xffc8
	s_movk_i32 s0, 0x100
	v_cmp_eq_u32_e64 s[26:27], 0, v0
	v_cmp_lt_u32_e64 s[28:29], 1, v0
	v_mad_i32_i24 v57, v18, s3, v49
	v_sub_u32_e32 v0, 0, v1
	s_mov_b32 s37, s36
	s_mov_b32 s34, s36
	;; [unrolled: 1-line block ×3, first 2 shown]
	v_cmp_gt_u32_e64 s[0:1], s0, v18
	v_cmp_lt_u32_e64 s[12:13], 31, v20
	v_cmp_gt_u32_e64 s[16:17], 4, v18
	v_cmp_lt_u32_e64 s[18:19], 63, v18
	v_cmp_eq_u32_e64 s[20:21], 0, v20
	v_cmp_eq_u32_e64 s[22:23], 0, v18
	v_cmp_ne_u32_e64 s[24:25], 0, v18
	v_add_u32_e32 v48, -4, v46
	v_or_b32_e32 v50, 1, v19
	v_or_b32_e32 v51, 2, v19
	;; [unrolled: 1-line block ×8, first 2 shown]
	v_add_u32_e32 v58, -8, v57
	v_mov_b64_e32 v[22:23], s[36:37]
	v_mov_b64_e32 v[24:25], s[34:35]
	v_mov_b32_e32 v59, 0x800
	v_add_u32_e32 v60, v57, v0
	s_branch .LBB52_2
.LBB52_1:                               ;   in Loop: Header=BB52_2 Depth=1
	s_or_b64 exec, exec, s[34:35]
	s_add_i32 s36, s36, 1
	s_cmpk_eq_i32 s36, 0x64
	s_cbranch_scc1 .LBB52_53
.LBB52_2:                               ; =>This Loop Header: Depth=1
                                        ;     Child Loop BB52_6 Depth 2
	s_and_saveexec_b64 s[34:35], s[0:1]
	s_cbranch_execz .LBB52_4
; %bb.3:                                ;   in Loop: Header=BB52_2 Depth=1
	v_mov_b32_e32 v20, v21
	ds_write_b64 v45, v[20:21]
.LBB52_4:                               ;   in Loop: Header=BB52_2 Depth=1
	s_or_b64 exec, exec, s[34:35]
	s_waitcnt lgkmcnt(0)
	s_barrier
	s_waitcnt vmcnt(0)
	ds_write2_b64 v40, v[14:15], v[16:17] offset1:1
	ds_write2_b64 v40, v[10:11], v[12:13] offset0:2 offset1:3
	ds_write2_b64 v40, v[6:7], v[8:9] offset0:4 offset1:5
	;; [unrolled: 1-line block ×3, first 2 shown]
	; wave barrier
	ds_read2st64_b64 v[0:3], v41 offset1:1
	ds_read2st64_b64 v[4:7], v41 offset0:2 offset1:3
	ds_read2st64_b64 v[8:11], v41 offset0:4 offset1:5
	;; [unrolled: 1-line block ×3, first 2 shown]
	s_mov_b64 s[40:41], 0
	s_waitcnt lgkmcnt(0)
	s_barrier
	s_waitcnt lgkmcnt(0)
	; wave barrier
	s_barrier
	s_branch .LBB52_6
.LBB52_5:                               ;   in Loop: Header=BB52_6 Depth=2
	v_lshlrev_b32_e32 v0, 3, v72
	s_barrier
	ds_write_b64 v0, v[38:39]
	v_lshlrev_b32_e32 v0, 3, v71
	ds_write_b64 v0, v[36:37]
	v_lshlrev_b32_e32 v0, 3, v70
	ds_write_b64 v0, v[34:35]
	v_lshlrev_b32_e32 v0, 3, v67
	ds_write_b64 v0, v[32:33]
	v_lshlrev_b32_e32 v0, 3, v64
	ds_write_b64 v0, v[30:31]
	v_lshlrev_b32_e32 v0, 3, v62
	ds_write_b64 v0, v[28:29]
	v_lshlrev_b32_e32 v0, 3, v61
	ds_write_b64 v0, v[26:27]
	v_lshlrev_b32_e32 v0, 3, v20
	ds_write_b64 v0, v[16:17]
	s_waitcnt lgkmcnt(0)
	s_barrier
	ds_read2st64_b64 v[0:3], v41 offset1:1
	ds_read2st64_b64 v[4:7], v41 offset0:2 offset1:3
	ds_read2st64_b64 v[8:11], v41 offset0:4 offset1:5
	;; [unrolled: 1-line block ×3, first 2 shown]
	s_add_u32 s40, s40, 8
	s_addc_u32 s41, s41, 0
	s_waitcnt lgkmcnt(0)
	s_barrier
	s_cbranch_execz .LBB52_30
.LBB52_6:                               ;   Parent Loop BB52_2 Depth=1
                                        ; =>  This Inner Loop Header: Depth=2
	v_mov_b64_e32 v[38:39], v[0:1]
	v_lshrrev_b64 v[0:1], s40, v[38:39]
	v_lshlrev_b32_e32 v1, 2, v0
	v_and_b32_e32 v20, 1, v0
	v_mov_b64_e32 v[36:37], v[2:3]
	v_and_b32_e32 v1, 0x3fc, v1
	v_lshl_add_u64 v[2:3], v[20:21], 0, -1
	v_cmp_ne_u32_e32 vcc, 0, v20
	v_add_u32_e32 v1, v1, v43
	v_mov_b64_e32 v[34:35], v[4:5]
	v_xor_b32_e32 v2, vcc_lo, v2
	v_lshl_add_u32 v4, v1, 2, 16
	v_xor_b32_e32 v1, vcc_hi, v3
	v_and_b32_e32 v5, exec_lo, v2
	v_lshlrev_b32_e32 v3, 30, v0
	v_mov_b32_e32 v2, v21
	v_cmp_gt_i64_e32 vcc, 0, v[2:3]
	v_not_b32_e32 v2, v3
	v_ashrrev_i32_e32 v2, 31, v2
	v_and_b32_e32 v1, exec_hi, v1
	v_xor_b32_e32 v3, vcc_hi, v2
	v_xor_b32_e32 v2, vcc_lo, v2
	v_and_b32_e32 v1, v1, v3
	v_and_b32_e32 v5, v5, v2
	v_lshlrev_b32_e32 v3, 29, v0
	v_mov_b32_e32 v2, v21
	v_cmp_gt_i64_e32 vcc, 0, v[2:3]
	v_not_b32_e32 v2, v3
	v_ashrrev_i32_e32 v2, 31, v2
	v_xor_b32_e32 v3, vcc_hi, v2
	v_xor_b32_e32 v2, vcc_lo, v2
	v_and_b32_e32 v1, v1, v3
	v_and_b32_e32 v5, v5, v2
	v_lshlrev_b32_e32 v3, 28, v0
	v_mov_b32_e32 v2, v21
	v_cmp_gt_i64_e32 vcc, 0, v[2:3]
	v_not_b32_e32 v2, v3
	v_ashrrev_i32_e32 v2, 31, v2
	;; [unrolled: 9-line block ×5, first 2 shown]
	v_xor_b32_e32 v3, vcc_hi, v2
	v_and_b32_e32 v3, v1, v3
	v_lshlrev_b32_e32 v1, 24, v0
	v_mov_b32_e32 v0, v21
	v_xor_b32_e32 v2, vcc_lo, v2
	v_cmp_gt_i64_e32 vcc, 0, v[0:1]
	v_not_b32_e32 v0, v1
	v_ashrrev_i32_e32 v0, 31, v0
	v_and_b32_e32 v2, v5, v2
	v_xor_b32_e32 v1, vcc_hi, v0
	v_xor_b32_e32 v0, vcc_lo, v0
	v_and_b32_e32 v0, v2, v0
	v_and_b32_e32 v1, v3, v1
	v_mbcnt_lo_u32_b32 v2, v0, 0
	v_mbcnt_hi_u32_b32 v5, v1, v2
	v_cmp_eq_u32_e32 vcc, 0, v5
	v_cmp_ne_u64_e64 s[34:35], 0, v[0:1]
	v_mov_b64_e32 v[32:33], v[6:7]
	v_mov_b64_e32 v[30:31], v[8:9]
	;; [unrolled: 1-line block ×5, first 2 shown]
	s_and_b64 s[42:43], s[34:35], vcc
	ds_write2_b64 v42, v[22:23], v[24:25] offset0:2 offset1:3
	s_waitcnt lgkmcnt(0)
	s_barrier
	s_waitcnt lgkmcnt(0)
	; wave barrier
	s_and_saveexec_b64 s[34:35], s[42:43]
	s_cbranch_execz .LBB52_8
; %bb.7:                                ;   in Loop: Header=BB52_6 Depth=2
	v_bcnt_u32_b32 v0, v0, 0
	v_bcnt_u32_b32 v0, v1, v0
	ds_write_b32 v4, v0
.LBB52_8:                               ;   in Loop: Header=BB52_6 Depth=2
	s_or_b64 exec, exec, s[34:35]
	v_lshrrev_b64 v[0:1], s40, v[36:37]
	v_lshlrev_b32_e32 v1, 2, v0
	v_and_b32_e32 v20, 1, v0
	v_and_b32_e32 v1, 0x3fc, v1
	v_lshl_add_u64 v[2:3], v[20:21], 0, -1
	v_cmp_ne_u32_e32 vcc, 0, v20
	v_add_lshl_u32 v1, v1, v43, 2
	s_nop 0
	v_xor_b32_e32 v2, vcc_lo, v2
	; wave barrier
	v_add_u32_e32 v7, 16, v1
	ds_read_b32 v6, v1 offset:16
	v_xor_b32_e32 v1, vcc_hi, v3
	v_and_b32_e32 v8, exec_lo, v2
	v_lshlrev_b32_e32 v3, 30, v0
	v_mov_b32_e32 v2, v21
	v_cmp_gt_i64_e32 vcc, 0, v[2:3]
	v_not_b32_e32 v2, v3
	v_ashrrev_i32_e32 v2, 31, v2
	v_and_b32_e32 v1, exec_hi, v1
	v_xor_b32_e32 v3, vcc_hi, v2
	v_xor_b32_e32 v2, vcc_lo, v2
	v_and_b32_e32 v1, v1, v3
	v_and_b32_e32 v8, v8, v2
	v_lshlrev_b32_e32 v3, 29, v0
	v_mov_b32_e32 v2, v21
	v_cmp_gt_i64_e32 vcc, 0, v[2:3]
	v_not_b32_e32 v2, v3
	v_ashrrev_i32_e32 v2, 31, v2
	v_xor_b32_e32 v3, vcc_hi, v2
	v_xor_b32_e32 v2, vcc_lo, v2
	v_and_b32_e32 v1, v1, v3
	v_and_b32_e32 v8, v8, v2
	v_lshlrev_b32_e32 v3, 28, v0
	v_mov_b32_e32 v2, v21
	v_cmp_gt_i64_e32 vcc, 0, v[2:3]
	v_not_b32_e32 v2, v3
	v_ashrrev_i32_e32 v2, 31, v2
	;; [unrolled: 9-line block ×5, first 2 shown]
	v_xor_b32_e32 v3, vcc_hi, v2
	v_and_b32_e32 v3, v1, v3
	v_lshlrev_b32_e32 v1, 24, v0
	v_mov_b32_e32 v0, v21
	v_xor_b32_e32 v2, vcc_lo, v2
	v_cmp_gt_i64_e32 vcc, 0, v[0:1]
	v_not_b32_e32 v0, v1
	v_ashrrev_i32_e32 v0, 31, v0
	v_and_b32_e32 v2, v8, v2
	v_xor_b32_e32 v1, vcc_hi, v0
	v_xor_b32_e32 v0, vcc_lo, v0
	v_and_b32_e32 v0, v2, v0
	v_and_b32_e32 v1, v3, v1
	v_mbcnt_lo_u32_b32 v2, v0, 0
	v_mbcnt_hi_u32_b32 v8, v1, v2
	v_cmp_eq_u32_e32 vcc, 0, v8
	v_cmp_ne_u64_e64 s[34:35], 0, v[0:1]
	s_and_b64 s[42:43], s[34:35], vcc
	; wave barrier
	s_and_saveexec_b64 s[34:35], s[42:43]
	s_cbranch_execz .LBB52_10
; %bb.9:                                ;   in Loop: Header=BB52_6 Depth=2
	v_bcnt_u32_b32 v0, v0, 0
	v_bcnt_u32_b32 v0, v1, v0
	s_waitcnt lgkmcnt(0)
	v_add_u32_e32 v0, v6, v0
	ds_write_b32 v7, v0
.LBB52_10:                              ;   in Loop: Header=BB52_6 Depth=2
	s_or_b64 exec, exec, s[34:35]
	v_lshrrev_b64 v[0:1], s40, v[34:35]
	v_lshlrev_b32_e32 v1, 2, v0
	v_and_b32_e32 v20, 1, v0
	v_and_b32_e32 v1, 0x3fc, v1
	v_lshl_add_u64 v[2:3], v[20:21], 0, -1
	v_cmp_ne_u32_e32 vcc, 0, v20
	v_add_lshl_u32 v1, v1, v43, 2
	s_nop 0
	v_xor_b32_e32 v2, vcc_lo, v2
	; wave barrier
	v_add_u32_e32 v10, 16, v1
	ds_read_b32 v9, v1 offset:16
	v_xor_b32_e32 v1, vcc_hi, v3
	v_and_b32_e32 v11, exec_lo, v2
	v_lshlrev_b32_e32 v3, 30, v0
	v_mov_b32_e32 v2, v21
	v_cmp_gt_i64_e32 vcc, 0, v[2:3]
	v_not_b32_e32 v2, v3
	v_ashrrev_i32_e32 v2, 31, v2
	v_and_b32_e32 v1, exec_hi, v1
	v_xor_b32_e32 v3, vcc_hi, v2
	v_xor_b32_e32 v2, vcc_lo, v2
	v_and_b32_e32 v1, v1, v3
	v_and_b32_e32 v11, v11, v2
	v_lshlrev_b32_e32 v3, 29, v0
	v_mov_b32_e32 v2, v21
	v_cmp_gt_i64_e32 vcc, 0, v[2:3]
	v_not_b32_e32 v2, v3
	v_ashrrev_i32_e32 v2, 31, v2
	v_xor_b32_e32 v3, vcc_hi, v2
	v_xor_b32_e32 v2, vcc_lo, v2
	v_and_b32_e32 v1, v1, v3
	v_and_b32_e32 v11, v11, v2
	v_lshlrev_b32_e32 v3, 28, v0
	v_mov_b32_e32 v2, v21
	v_cmp_gt_i64_e32 vcc, 0, v[2:3]
	v_not_b32_e32 v2, v3
	v_ashrrev_i32_e32 v2, 31, v2
	;; [unrolled: 9-line block ×5, first 2 shown]
	v_xor_b32_e32 v3, vcc_hi, v2
	v_and_b32_e32 v3, v1, v3
	v_lshlrev_b32_e32 v1, 24, v0
	v_mov_b32_e32 v0, v21
	v_xor_b32_e32 v2, vcc_lo, v2
	v_cmp_gt_i64_e32 vcc, 0, v[0:1]
	v_not_b32_e32 v0, v1
	v_ashrrev_i32_e32 v0, 31, v0
	v_and_b32_e32 v2, v11, v2
	v_xor_b32_e32 v1, vcc_hi, v0
	v_xor_b32_e32 v0, vcc_lo, v0
	v_and_b32_e32 v0, v2, v0
	v_and_b32_e32 v1, v3, v1
	v_mbcnt_lo_u32_b32 v2, v0, 0
	v_mbcnt_hi_u32_b32 v11, v1, v2
	v_cmp_eq_u32_e32 vcc, 0, v11
	v_cmp_ne_u64_e64 s[34:35], 0, v[0:1]
	s_and_b64 s[42:43], s[34:35], vcc
	; wave barrier
	s_and_saveexec_b64 s[34:35], s[42:43]
	s_cbranch_execz .LBB52_12
; %bb.11:                               ;   in Loop: Header=BB52_6 Depth=2
	v_bcnt_u32_b32 v0, v0, 0
	v_bcnt_u32_b32 v0, v1, v0
	s_waitcnt lgkmcnt(0)
	v_add_u32_e32 v0, v9, v0
	ds_write_b32 v10, v0
.LBB52_12:                              ;   in Loop: Header=BB52_6 Depth=2
	s_or_b64 exec, exec, s[34:35]
	v_lshrrev_b64 v[0:1], s40, v[32:33]
	v_lshlrev_b32_e32 v1, 2, v0
	v_and_b32_e32 v20, 1, v0
	v_and_b32_e32 v1, 0x3fc, v1
	v_lshl_add_u64 v[2:3], v[20:21], 0, -1
	v_cmp_ne_u32_e32 vcc, 0, v20
	v_add_lshl_u32 v1, v1, v43, 2
	s_nop 0
	v_xor_b32_e32 v2, vcc_lo, v2
	; wave barrier
	v_add_u32_e32 v13, 16, v1
	ds_read_b32 v12, v1 offset:16
	v_xor_b32_e32 v1, vcc_hi, v3
	v_and_b32_e32 v14, exec_lo, v2
	v_lshlrev_b32_e32 v3, 30, v0
	v_mov_b32_e32 v2, v21
	v_cmp_gt_i64_e32 vcc, 0, v[2:3]
	v_not_b32_e32 v2, v3
	v_ashrrev_i32_e32 v2, 31, v2
	v_and_b32_e32 v1, exec_hi, v1
	v_xor_b32_e32 v3, vcc_hi, v2
	v_xor_b32_e32 v2, vcc_lo, v2
	v_and_b32_e32 v1, v1, v3
	v_and_b32_e32 v14, v14, v2
	v_lshlrev_b32_e32 v3, 29, v0
	v_mov_b32_e32 v2, v21
	v_cmp_gt_i64_e32 vcc, 0, v[2:3]
	v_not_b32_e32 v2, v3
	v_ashrrev_i32_e32 v2, 31, v2
	v_xor_b32_e32 v3, vcc_hi, v2
	v_xor_b32_e32 v2, vcc_lo, v2
	v_and_b32_e32 v1, v1, v3
	v_and_b32_e32 v14, v14, v2
	v_lshlrev_b32_e32 v3, 28, v0
	v_mov_b32_e32 v2, v21
	v_cmp_gt_i64_e32 vcc, 0, v[2:3]
	v_not_b32_e32 v2, v3
	v_ashrrev_i32_e32 v2, 31, v2
	;; [unrolled: 9-line block ×5, first 2 shown]
	v_xor_b32_e32 v3, vcc_hi, v2
	v_and_b32_e32 v3, v1, v3
	v_lshlrev_b32_e32 v1, 24, v0
	v_mov_b32_e32 v0, v21
	v_xor_b32_e32 v2, vcc_lo, v2
	v_cmp_gt_i64_e32 vcc, 0, v[0:1]
	v_not_b32_e32 v0, v1
	v_ashrrev_i32_e32 v0, 31, v0
	v_and_b32_e32 v2, v14, v2
	v_xor_b32_e32 v1, vcc_hi, v0
	v_xor_b32_e32 v0, vcc_lo, v0
	v_and_b32_e32 v0, v2, v0
	v_and_b32_e32 v1, v3, v1
	v_mbcnt_lo_u32_b32 v2, v0, 0
	v_mbcnt_hi_u32_b32 v14, v1, v2
	v_cmp_eq_u32_e32 vcc, 0, v14
	v_cmp_ne_u64_e64 s[34:35], 0, v[0:1]
	s_and_b64 s[42:43], s[34:35], vcc
	; wave barrier
	s_and_saveexec_b64 s[34:35], s[42:43]
	s_cbranch_execz .LBB52_14
; %bb.13:                               ;   in Loop: Header=BB52_6 Depth=2
	v_bcnt_u32_b32 v0, v0, 0
	v_bcnt_u32_b32 v0, v1, v0
	s_waitcnt lgkmcnt(0)
	v_add_u32_e32 v0, v12, v0
	ds_write_b32 v13, v0
.LBB52_14:                              ;   in Loop: Header=BB52_6 Depth=2
	s_or_b64 exec, exec, s[34:35]
	v_lshrrev_b64 v[0:1], s40, v[30:31]
	v_lshlrev_b32_e32 v1, 2, v0
	v_and_b32_e32 v20, 1, v0
	v_and_b32_e32 v1, 0x3fc, v1
	v_lshl_add_u64 v[2:3], v[20:21], 0, -1
	v_cmp_ne_u32_e32 vcc, 0, v20
	v_add_lshl_u32 v1, v1, v43, 2
	s_nop 0
	v_xor_b32_e32 v2, vcc_lo, v2
	; wave barrier
	v_add_u32_e32 v61, 16, v1
	ds_read_b32 v15, v1 offset:16
	v_xor_b32_e32 v1, vcc_hi, v3
	v_and_b32_e32 v20, exec_lo, v2
	v_lshlrev_b32_e32 v3, 30, v0
	v_mov_b32_e32 v2, v21
	v_cmp_gt_i64_e32 vcc, 0, v[2:3]
	v_not_b32_e32 v2, v3
	v_ashrrev_i32_e32 v2, 31, v2
	v_and_b32_e32 v1, exec_hi, v1
	v_xor_b32_e32 v3, vcc_hi, v2
	v_xor_b32_e32 v2, vcc_lo, v2
	v_and_b32_e32 v1, v1, v3
	v_and_b32_e32 v20, v20, v2
	v_lshlrev_b32_e32 v3, 29, v0
	v_mov_b32_e32 v2, v21
	v_cmp_gt_i64_e32 vcc, 0, v[2:3]
	v_not_b32_e32 v2, v3
	v_ashrrev_i32_e32 v2, 31, v2
	v_xor_b32_e32 v3, vcc_hi, v2
	v_xor_b32_e32 v2, vcc_lo, v2
	v_and_b32_e32 v1, v1, v3
	v_and_b32_e32 v20, v20, v2
	v_lshlrev_b32_e32 v3, 28, v0
	v_mov_b32_e32 v2, v21
	v_cmp_gt_i64_e32 vcc, 0, v[2:3]
	v_not_b32_e32 v2, v3
	v_ashrrev_i32_e32 v2, 31, v2
	;; [unrolled: 9-line block ×5, first 2 shown]
	v_xor_b32_e32 v3, vcc_hi, v2
	v_and_b32_e32 v3, v1, v3
	v_lshlrev_b32_e32 v1, 24, v0
	v_mov_b32_e32 v0, v21
	v_xor_b32_e32 v2, vcc_lo, v2
	v_cmp_gt_i64_e32 vcc, 0, v[0:1]
	v_not_b32_e32 v0, v1
	v_ashrrev_i32_e32 v0, 31, v0
	v_and_b32_e32 v2, v20, v2
	v_xor_b32_e32 v1, vcc_hi, v0
	v_xor_b32_e32 v0, vcc_lo, v0
	v_and_b32_e32 v0, v2, v0
	v_and_b32_e32 v1, v3, v1
	v_mbcnt_lo_u32_b32 v2, v0, 0
	v_mbcnt_hi_u32_b32 v62, v1, v2
	v_cmp_eq_u32_e32 vcc, 0, v62
	v_cmp_ne_u64_e64 s[34:35], 0, v[0:1]
	s_and_b64 s[42:43], s[34:35], vcc
	; wave barrier
	s_and_saveexec_b64 s[34:35], s[42:43]
	s_cbranch_execz .LBB52_16
; %bb.15:                               ;   in Loop: Header=BB52_6 Depth=2
	v_bcnt_u32_b32 v0, v0, 0
	v_bcnt_u32_b32 v0, v1, v0
	s_waitcnt lgkmcnt(0)
	v_add_u32_e32 v0, v15, v0
	ds_write_b32 v61, v0
.LBB52_16:                              ;   in Loop: Header=BB52_6 Depth=2
	s_or_b64 exec, exec, s[34:35]
	v_lshrrev_b64 v[0:1], s40, v[28:29]
	v_lshlrev_b32_e32 v1, 2, v0
	v_and_b32_e32 v20, 1, v0
	v_and_b32_e32 v1, 0x3fc, v1
	v_lshl_add_u64 v[2:3], v[20:21], 0, -1
	v_cmp_ne_u32_e32 vcc, 0, v20
	v_add_lshl_u32 v1, v1, v43, 2
	s_nop 0
	v_xor_b32_e32 v2, vcc_lo, v2
	; wave barrier
	v_add_u32_e32 v64, 16, v1
	ds_read_b32 v63, v1 offset:16
	v_xor_b32_e32 v1, vcc_hi, v3
	v_and_b32_e32 v20, exec_lo, v2
	v_lshlrev_b32_e32 v3, 30, v0
	v_mov_b32_e32 v2, v21
	v_cmp_gt_i64_e32 vcc, 0, v[2:3]
	v_not_b32_e32 v2, v3
	v_ashrrev_i32_e32 v2, 31, v2
	v_and_b32_e32 v1, exec_hi, v1
	v_xor_b32_e32 v3, vcc_hi, v2
	v_xor_b32_e32 v2, vcc_lo, v2
	v_and_b32_e32 v1, v1, v3
	v_and_b32_e32 v20, v20, v2
	v_lshlrev_b32_e32 v3, 29, v0
	v_mov_b32_e32 v2, v21
	v_cmp_gt_i64_e32 vcc, 0, v[2:3]
	v_not_b32_e32 v2, v3
	v_ashrrev_i32_e32 v2, 31, v2
	v_xor_b32_e32 v3, vcc_hi, v2
	v_xor_b32_e32 v2, vcc_lo, v2
	v_and_b32_e32 v1, v1, v3
	v_and_b32_e32 v20, v20, v2
	v_lshlrev_b32_e32 v3, 28, v0
	v_mov_b32_e32 v2, v21
	v_cmp_gt_i64_e32 vcc, 0, v[2:3]
	v_not_b32_e32 v2, v3
	v_ashrrev_i32_e32 v2, 31, v2
	;; [unrolled: 9-line block ×5, first 2 shown]
	v_xor_b32_e32 v3, vcc_hi, v2
	v_and_b32_e32 v3, v1, v3
	v_lshlrev_b32_e32 v1, 24, v0
	v_mov_b32_e32 v0, v21
	v_xor_b32_e32 v2, vcc_lo, v2
	v_cmp_gt_i64_e32 vcc, 0, v[0:1]
	v_not_b32_e32 v0, v1
	v_ashrrev_i32_e32 v0, 31, v0
	v_and_b32_e32 v2, v20, v2
	v_xor_b32_e32 v1, vcc_hi, v0
	v_xor_b32_e32 v0, vcc_lo, v0
	v_and_b32_e32 v0, v2, v0
	v_and_b32_e32 v1, v3, v1
	v_mbcnt_lo_u32_b32 v2, v0, 0
	v_mbcnt_hi_u32_b32 v65, v1, v2
	v_cmp_eq_u32_e32 vcc, 0, v65
	v_cmp_ne_u64_e64 s[34:35], 0, v[0:1]
	s_and_b64 s[42:43], s[34:35], vcc
	; wave barrier
	s_and_saveexec_b64 s[34:35], s[42:43]
	s_cbranch_execz .LBB52_18
; %bb.17:                               ;   in Loop: Header=BB52_6 Depth=2
	v_bcnt_u32_b32 v0, v0, 0
	v_bcnt_u32_b32 v0, v1, v0
	s_waitcnt lgkmcnt(0)
	v_add_u32_e32 v0, v63, v0
	ds_write_b32 v64, v0
.LBB52_18:                              ;   in Loop: Header=BB52_6 Depth=2
	s_or_b64 exec, exec, s[34:35]
	v_lshrrev_b64 v[0:1], s40, v[26:27]
	v_lshlrev_b32_e32 v1, 2, v0
	v_and_b32_e32 v20, 1, v0
	v_and_b32_e32 v1, 0x3fc, v1
	v_lshl_add_u64 v[2:3], v[20:21], 0, -1
	v_cmp_ne_u32_e32 vcc, 0, v20
	v_add_lshl_u32 v1, v1, v43, 2
	s_nop 0
	v_xor_b32_e32 v2, vcc_lo, v2
	; wave barrier
	v_add_u32_e32 v67, 16, v1
	ds_read_b32 v66, v1 offset:16
	v_xor_b32_e32 v1, vcc_hi, v3
	v_and_b32_e32 v20, exec_lo, v2
	v_lshlrev_b32_e32 v3, 30, v0
	v_mov_b32_e32 v2, v21
	v_cmp_gt_i64_e32 vcc, 0, v[2:3]
	v_not_b32_e32 v2, v3
	v_ashrrev_i32_e32 v2, 31, v2
	v_and_b32_e32 v1, exec_hi, v1
	v_xor_b32_e32 v3, vcc_hi, v2
	v_xor_b32_e32 v2, vcc_lo, v2
	v_and_b32_e32 v1, v1, v3
	v_and_b32_e32 v20, v20, v2
	v_lshlrev_b32_e32 v3, 29, v0
	v_mov_b32_e32 v2, v21
	v_cmp_gt_i64_e32 vcc, 0, v[2:3]
	v_not_b32_e32 v2, v3
	v_ashrrev_i32_e32 v2, 31, v2
	v_xor_b32_e32 v3, vcc_hi, v2
	v_xor_b32_e32 v2, vcc_lo, v2
	v_and_b32_e32 v1, v1, v3
	v_and_b32_e32 v20, v20, v2
	v_lshlrev_b32_e32 v3, 28, v0
	v_mov_b32_e32 v2, v21
	v_cmp_gt_i64_e32 vcc, 0, v[2:3]
	v_not_b32_e32 v2, v3
	v_ashrrev_i32_e32 v2, 31, v2
	;; [unrolled: 9-line block ×5, first 2 shown]
	v_xor_b32_e32 v3, vcc_hi, v2
	v_and_b32_e32 v3, v1, v3
	v_lshlrev_b32_e32 v1, 24, v0
	v_mov_b32_e32 v0, v21
	v_xor_b32_e32 v2, vcc_lo, v2
	v_cmp_gt_i64_e32 vcc, 0, v[0:1]
	v_not_b32_e32 v0, v1
	v_ashrrev_i32_e32 v0, 31, v0
	v_and_b32_e32 v2, v20, v2
	v_xor_b32_e32 v1, vcc_hi, v0
	v_xor_b32_e32 v0, vcc_lo, v0
	v_and_b32_e32 v0, v2, v0
	v_and_b32_e32 v1, v3, v1
	v_mbcnt_lo_u32_b32 v2, v0, 0
	v_mbcnt_hi_u32_b32 v68, v1, v2
	v_cmp_eq_u32_e32 vcc, 0, v68
	v_cmp_ne_u64_e64 s[34:35], 0, v[0:1]
	s_and_b64 s[42:43], s[34:35], vcc
	; wave barrier
	s_and_saveexec_b64 s[34:35], s[42:43]
	s_cbranch_execz .LBB52_20
; %bb.19:                               ;   in Loop: Header=BB52_6 Depth=2
	v_bcnt_u32_b32 v0, v0, 0
	v_bcnt_u32_b32 v0, v1, v0
	s_waitcnt lgkmcnt(0)
	v_add_u32_e32 v0, v66, v0
	ds_write_b32 v67, v0
.LBB52_20:                              ;   in Loop: Header=BB52_6 Depth=2
	s_or_b64 exec, exec, s[34:35]
	v_lshrrev_b64 v[0:1], s40, v[16:17]
	v_lshlrev_b32_e32 v1, 2, v0
	v_and_b32_e32 v20, 1, v0
	v_and_b32_e32 v1, 0x3fc, v1
	v_lshl_add_u64 v[2:3], v[20:21], 0, -1
	v_cmp_ne_u32_e32 vcc, 0, v20
	v_add_lshl_u32 v1, v1, v43, 2
	s_nop 0
	v_xor_b32_e32 v2, vcc_lo, v2
	; wave barrier
	v_add_u32_e32 v70, 16, v1
	ds_read_b32 v69, v1 offset:16
	v_xor_b32_e32 v1, vcc_hi, v3
	v_and_b32_e32 v20, exec_lo, v2
	v_lshlrev_b32_e32 v3, 30, v0
	v_mov_b32_e32 v2, v21
	v_cmp_gt_i64_e32 vcc, 0, v[2:3]
	v_not_b32_e32 v2, v3
	v_ashrrev_i32_e32 v2, 31, v2
	v_and_b32_e32 v1, exec_hi, v1
	v_xor_b32_e32 v3, vcc_hi, v2
	v_xor_b32_e32 v2, vcc_lo, v2
	v_and_b32_e32 v1, v1, v3
	v_and_b32_e32 v20, v20, v2
	v_lshlrev_b32_e32 v3, 29, v0
	v_mov_b32_e32 v2, v21
	v_cmp_gt_i64_e32 vcc, 0, v[2:3]
	v_not_b32_e32 v2, v3
	v_ashrrev_i32_e32 v2, 31, v2
	v_xor_b32_e32 v3, vcc_hi, v2
	v_xor_b32_e32 v2, vcc_lo, v2
	v_and_b32_e32 v1, v1, v3
	v_and_b32_e32 v20, v20, v2
	v_lshlrev_b32_e32 v3, 28, v0
	v_mov_b32_e32 v2, v21
	v_cmp_gt_i64_e32 vcc, 0, v[2:3]
	v_not_b32_e32 v2, v3
	v_ashrrev_i32_e32 v2, 31, v2
	;; [unrolled: 9-line block ×5, first 2 shown]
	v_xor_b32_e32 v3, vcc_hi, v2
	v_and_b32_e32 v3, v1, v3
	v_lshlrev_b32_e32 v1, 24, v0
	v_mov_b32_e32 v0, v21
	v_xor_b32_e32 v2, vcc_lo, v2
	v_cmp_gt_i64_e32 vcc, 0, v[0:1]
	v_not_b32_e32 v0, v1
	v_ashrrev_i32_e32 v0, 31, v0
	v_and_b32_e32 v2, v20, v2
	v_xor_b32_e32 v1, vcc_hi, v0
	v_xor_b32_e32 v0, vcc_lo, v0
	v_and_b32_e32 v0, v2, v0
	v_and_b32_e32 v1, v3, v1
	v_mbcnt_lo_u32_b32 v2, v0, 0
	v_mbcnt_hi_u32_b32 v20, v1, v2
	v_cmp_eq_u32_e32 vcc, 0, v20
	v_cmp_ne_u64_e64 s[34:35], 0, v[0:1]
	s_and_b64 s[42:43], s[34:35], vcc
	; wave barrier
	s_and_saveexec_b64 s[34:35], s[42:43]
	s_cbranch_execz .LBB52_22
; %bb.21:                               ;   in Loop: Header=BB52_6 Depth=2
	v_bcnt_u32_b32 v0, v0, 0
	v_bcnt_u32_b32 v0, v1, v0
	s_waitcnt lgkmcnt(0)
	v_add_u32_e32 v0, v69, v0
	ds_write_b32 v70, v0
.LBB52_22:                              ;   in Loop: Header=BB52_6 Depth=2
	s_or_b64 exec, exec, s[34:35]
	; wave barrier
	s_waitcnt lgkmcnt(0)
	s_barrier
	ds_read2_b64 v[0:3], v42 offset0:2 offset1:3
	s_waitcnt lgkmcnt(0)
	v_add_u32_e32 v71, v1, v0
	v_add3_u32 v3, v71, v2, v3
	s_nop 1
	v_mov_b32_dpp v71, v3 row_shr:1 row_mask:0xf bank_mask:0xf
	v_cndmask_b32_e64 v71, v71, 0, s[30:31]
	v_add_u32_e32 v3, v71, v3
	s_nop 1
	v_mov_b32_dpp v71, v3 row_shr:2 row_mask:0xf bank_mask:0xf
	v_cndmask_b32_e64 v71, 0, v71, s[4:5]
	v_add_u32_e32 v3, v3, v71
	;; [unrolled: 4-line block ×4, first 2 shown]
	s_nop 1
	v_mov_b32_dpp v71, v3 row_bcast:15 row_mask:0xf bank_mask:0xf
	v_cndmask_b32_e64 v71, v71, 0, s[10:11]
	v_add_u32_e32 v3, v3, v71
	s_nop 1
	v_mov_b32_dpp v71, v3 row_bcast:31 row_mask:0xf bank_mask:0xf
	v_cndmask_b32_e64 v71, 0, v71, s[12:13]
	v_add_u32_e32 v3, v3, v71
	s_and_saveexec_b64 s[34:35], s[14:15]
	s_cbranch_execz .LBB52_24
; %bb.23:                               ;   in Loop: Header=BB52_6 Depth=2
	ds_write_b32 v46, v3
.LBB52_24:                              ;   in Loop: Header=BB52_6 Depth=2
	s_or_b64 exec, exec, s[34:35]
	s_waitcnt lgkmcnt(0)
	s_barrier
	s_and_saveexec_b64 s[34:35], s[16:17]
	s_cbranch_execz .LBB52_26
; %bb.25:                               ;   in Loop: Header=BB52_6 Depth=2
	ds_read_b32 v71, v47
	s_waitcnt lgkmcnt(0)
	s_nop 0
	v_mov_b32_dpp v72, v71 row_shr:1 row_mask:0xf bank_mask:0xf
	v_cndmask_b32_e64 v72, v72, 0, s[26:27]
	v_add_u32_e32 v71, v72, v71
	s_nop 1
	v_mov_b32_dpp v72, v71 row_shr:2 row_mask:0xf bank_mask:0xf
	v_cndmask_b32_e64 v72, 0, v72, s[28:29]
	v_add_u32_e32 v71, v71, v72
	ds_write_b32 v47, v71
.LBB52_26:                              ;   in Loop: Header=BB52_6 Depth=2
	s_or_b64 exec, exec, s[34:35]
	v_mov_b32_e32 v71, 0
	s_waitcnt lgkmcnt(0)
	s_barrier
	s_and_saveexec_b64 s[34:35], s[18:19]
	s_cbranch_execz .LBB52_28
; %bb.27:                               ;   in Loop: Header=BB52_6 Depth=2
	ds_read_b32 v71, v48
.LBB52_28:                              ;   in Loop: Header=BB52_6 Depth=2
	s_or_b64 exec, exec, s[34:35]
	s_waitcnt lgkmcnt(0)
	v_add_u32_e32 v3, v71, v3
	ds_bpermute_b32 v3, v44, v3
	s_cmp_gt_u32 s40, 55
	s_waitcnt lgkmcnt(0)
	v_cndmask_b32_e64 v3, v3, v71, s[20:21]
	v_cndmask_b32_e64 v72, v3, 0, s[22:23]
	v_add_u32_e32 v73, v72, v0
	v_add_u32_e32 v0, v73, v1
	;; [unrolled: 1-line block ×3, first 2 shown]
	ds_write2_b64 v42, v[72:73], v[0:1] offset0:2 offset1:3
	s_waitcnt lgkmcnt(0)
	s_barrier
	ds_read_b32 v0, v4
	ds_read_b32 v1, v7
	;; [unrolled: 1-line block ×8, first 2 shown]
	s_waitcnt lgkmcnt(7)
	v_add_u32_e32 v72, v0, v5
	s_waitcnt lgkmcnt(6)
	v_add3_u32 v71, v8, v6, v1
	s_waitcnt lgkmcnt(5)
	v_add3_u32 v70, v11, v9, v2
	;; [unrolled: 2-line block ×7, first 2 shown]
	s_cbranch_scc0 .LBB52_5
; %bb.29:                               ;   in Loop: Header=BB52_2 Depth=1
                                        ; implicit-def: $vgpr0_vgpr1
                                        ; implicit-def: $vgpr4_vgpr5
                                        ; implicit-def: $vgpr8_vgpr9
                                        ; implicit-def: $vgpr12_vgpr13
                                        ; implicit-def: $sgpr40_sgpr41
.LBB52_30:                              ;   in Loop: Header=BB52_2 Depth=1
	v_lshlrev_b32_e32 v0, 3, v72
	s_barrier
	ds_write_b64 v0, v[38:39]
	v_lshlrev_b32_e32 v0, 3, v71
	ds_write_b64 v0, v[36:37]
	v_lshlrev_b32_e32 v0, 3, v70
	;; [unrolled: 2-line block ×7, first 2 shown]
	ds_write_b64 v0, v[16:17]
	s_waitcnt lgkmcnt(0)
	s_barrier
	ds_read2_b64 v[14:17], v49 offset1:1
	ds_read2_b64 v[10:13], v49 offset0:2 offset1:3
	ds_read2_b64 v[6:9], v49 offset0:4 offset1:5
	;; [unrolled: 1-line block ×3, first 2 shown]
	s_waitcnt lgkmcnt(0)
	s_barrier
	s_and_saveexec_b64 s[34:35], s[0:1]
	s_cbranch_execz .LBB52_32
; %bb.31:                               ;   in Loop: Header=BB52_2 Depth=1
	ds_write2st64_b32 v60, v59, v59 offset0:16 offset1:20
.LBB52_32:                              ;   in Loop: Header=BB52_2 Depth=1
	s_or_b64 exec, exec, s[34:35]
	v_cmp_ne_u32_e32 vcc, v2, v4
	v_lshlrev_b32_e32 v1, 2, v2
	s_waitcnt lgkmcnt(0)
	s_barrier
	ds_write_b64 v57, v[4:5]
	s_and_saveexec_b64 s[34:35], vcc
	s_cbranch_execz .LBB52_34
; %bb.33:                               ;   in Loop: Header=BB52_2 Depth=1
	v_lshlrev_b32_e32 v0, 2, v4
	ds_write_b32 v0, v56 offset:4096
	ds_write_b32 v1, v56 offset:5120
.LBB52_34:                              ;   in Loop: Header=BB52_2 Depth=1
	s_or_b64 exec, exec, s[34:35]
	v_cmp_ne_u32_e32 vcc, v2, v8
	v_lshlrev_b32_e32 v20, 2, v8
	v_mov_b32_e32 v0, v2
	s_and_saveexec_b64 s[34:35], vcc
	s_cbranch_execz .LBB52_36
; %bb.35:                               ;   in Loop: Header=BB52_2 Depth=1
	v_mov_b32_e32 v0, v8
	ds_write_b32 v1, v55 offset:4096
	ds_write_b32 v20, v55 offset:5120
.LBB52_36:                              ;   in Loop: Header=BB52_2 Depth=1
	s_or_b64 exec, exec, s[34:35]
	v_cmp_ne_u32_e32 vcc, v0, v6
	v_lshlrev_b32_e32 v1, 2, v6
	s_and_saveexec_b64 s[34:35], vcc
	s_cbranch_execz .LBB52_38
; %bb.37:                               ;   in Loop: Header=BB52_2 Depth=1
	v_mov_b32_e32 v0, v6
	ds_write_b32 v20, v54 offset:4096
	ds_write_b32 v1, v54 offset:5120
.LBB52_38:                              ;   in Loop: Header=BB52_2 Depth=1
	s_or_b64 exec, exec, s[34:35]
	v_cmp_ne_u32_e32 vcc, v0, v12
	v_lshlrev_b32_e32 v20, 2, v12
	;; [unrolled: 10-line block ×5, first 2 shown]
	s_and_saveexec_b64 s[34:35], vcc
	s_cbranch_execz .LBB52_46
; %bb.45:                               ;   in Loop: Header=BB52_2 Depth=1
	ds_write_b32 v20, v50 offset:4096
	ds_write_b32 v0, v50 offset:5120
.LBB52_46:                              ;   in Loop: Header=BB52_2 Depth=1
	s_or_b64 exec, exec, s[34:35]
	s_waitcnt lgkmcnt(0)
	s_barrier
	s_and_saveexec_b64 s[34:35], s[24:25]
	s_cbranch_execz .LBB52_49
; %bb.47:                               ;   in Loop: Header=BB52_2 Depth=1
	ds_read_b32 v1, v58
	s_waitcnt lgkmcnt(0)
	v_cmp_ne_u32_e32 vcc, v1, v14
	s_and_b64 exec, exec, vcc
	s_cbranch_execz .LBB52_49
; %bb.48:                               ;   in Loop: Header=BB52_2 Depth=1
	ds_write_b32 v0, v19 offset:4096
	ds_read_b32 v1, v58
	s_waitcnt lgkmcnt(0)
	v_lshlrev_b32_e32 v1, 2, v1
	ds_write_b32 v1, v19 offset:5120
.LBB52_49:                              ;   in Loop: Header=BB52_2 Depth=1
	s_or_b64 exec, exec, s[34:35]
	s_waitcnt lgkmcnt(0)
	s_barrier
	s_and_saveexec_b64 s[34:35], s[22:23]
	s_cbranch_execz .LBB52_51
; %bb.50:                               ;   in Loop: Header=BB52_2 Depth=1
	ds_write_b32 v0, v21 offset:4096
.LBB52_51:                              ;   in Loop: Header=BB52_2 Depth=1
	s_or_b64 exec, exec, s[34:35]
	s_waitcnt lgkmcnt(0)
	s_barrier
	s_and_saveexec_b64 s[34:35], s[0:1]
	s_cbranch_execz .LBB52_1
; %bb.52:                               ;   in Loop: Header=BB52_2 Depth=1
	ds_read2st64_b32 v[0:1], v60 offset0:16 offset1:20
	ds_read_b64 v[26:27], v45
	s_waitcnt lgkmcnt(1)
	v_sub_u32_e32 v20, v1, v0
	s_waitcnt lgkmcnt(0)
	v_lshl_add_u64 v[0:1], v[26:27], 0, v[20:21]
	ds_write_b64 v45, v[0:1]
	s_branch .LBB52_1
.LBB52_53:
	s_and_saveexec_b64 s[4:5], s[0:1]
	s_cbranch_execz .LBB52_55
; %bb.54:
	ds_read_b64 v[2:3], v45
	v_mov_b32_e32 v0, s38
	v_mov_b32_e32 v1, s39
	v_lshl_or_b32 v4, s2, 8, v18
	v_mov_b32_e32 v5, 0
	v_lshl_add_u64 v[0:1], v[4:5], 3, v[0:1]
	s_waitcnt lgkmcnt(0)
	global_store_dwordx2 v[0:1], v[2:3], off
.LBB52_55:
	s_endpgm
	.section	.rodata,"a",@progbits
	.p2align	6, 0x0
	.amdhsa_kernel _Z6kernelI9histogramILN6hipcub23BlockHistogramAlgorithmE1EEyLj256ELj8ELj256ELj100EEvPKT0_PS4_
		.amdhsa_group_segment_fixed_size 18432
		.amdhsa_private_segment_fixed_size 0
		.amdhsa_kernarg_size 272
		.amdhsa_user_sgpr_count 2
		.amdhsa_user_sgpr_dispatch_ptr 0
		.amdhsa_user_sgpr_queue_ptr 0
		.amdhsa_user_sgpr_kernarg_segment_ptr 1
		.amdhsa_user_sgpr_dispatch_id 0
		.amdhsa_user_sgpr_kernarg_preload_length 0
		.amdhsa_user_sgpr_kernarg_preload_offset 0
		.amdhsa_user_sgpr_private_segment_size 0
		.amdhsa_uses_dynamic_stack 0
		.amdhsa_enable_private_segment 0
		.amdhsa_system_sgpr_workgroup_id_x 1
		.amdhsa_system_sgpr_workgroup_id_y 0
		.amdhsa_system_sgpr_workgroup_id_z 0
		.amdhsa_system_sgpr_workgroup_info 0
		.amdhsa_system_vgpr_workitem_id 2
		.amdhsa_next_free_vgpr 74
		.amdhsa_next_free_sgpr 44
		.amdhsa_accum_offset 76
		.amdhsa_reserve_vcc 1
		.amdhsa_float_round_mode_32 0
		.amdhsa_float_round_mode_16_64 0
		.amdhsa_float_denorm_mode_32 3
		.amdhsa_float_denorm_mode_16_64 3
		.amdhsa_dx10_clamp 1
		.amdhsa_ieee_mode 1
		.amdhsa_fp16_overflow 0
		.amdhsa_tg_split 0
		.amdhsa_exception_fp_ieee_invalid_op 0
		.amdhsa_exception_fp_denorm_src 0
		.amdhsa_exception_fp_ieee_div_zero 0
		.amdhsa_exception_fp_ieee_overflow 0
		.amdhsa_exception_fp_ieee_underflow 0
		.amdhsa_exception_fp_ieee_inexact 0
		.amdhsa_exception_int_div_zero 0
	.end_amdhsa_kernel
	.section	.text._Z6kernelI9histogramILN6hipcub23BlockHistogramAlgorithmE1EEyLj256ELj8ELj256ELj100EEvPKT0_PS4_,"axG",@progbits,_Z6kernelI9histogramILN6hipcub23BlockHistogramAlgorithmE1EEyLj256ELj8ELj256ELj100EEvPKT0_PS4_,comdat
.Lfunc_end52:
	.size	_Z6kernelI9histogramILN6hipcub23BlockHistogramAlgorithmE1EEyLj256ELj8ELj256ELj100EEvPKT0_PS4_, .Lfunc_end52-_Z6kernelI9histogramILN6hipcub23BlockHistogramAlgorithmE1EEyLj256ELj8ELj256ELj100EEvPKT0_PS4_
                                        ; -- End function
	.section	.AMDGPU.csdata,"",@progbits
; Kernel info:
; codeLenInByte = 5280
; NumSgprs: 50
; NumVgprs: 74
; NumAgprs: 0
; TotalNumVgprs: 74
; ScratchSize: 0
; MemoryBound: 0
; FloatMode: 240
; IeeeMode: 1
; LDSByteSize: 18432 bytes/workgroup (compile time only)
; SGPRBlocks: 6
; VGPRBlocks: 9
; NumSGPRsForWavesPerEU: 50
; NumVGPRsForWavesPerEU: 74
; AccumOffset: 76
; Occupancy: 3
; WaveLimiterHint : 0
; COMPUTE_PGM_RSRC2:SCRATCH_EN: 0
; COMPUTE_PGM_RSRC2:USER_SGPR: 2
; COMPUTE_PGM_RSRC2:TRAP_HANDLER: 0
; COMPUTE_PGM_RSRC2:TGID_X_EN: 1
; COMPUTE_PGM_RSRC2:TGID_Y_EN: 0
; COMPUTE_PGM_RSRC2:TGID_Z_EN: 0
; COMPUTE_PGM_RSRC2:TIDIG_COMP_CNT: 2
; COMPUTE_PGM_RSRC3_GFX90A:ACCUM_OFFSET: 18
; COMPUTE_PGM_RSRC3_GFX90A:TG_SPLIT: 0
	.section	.text._Z6kernelI9histogramILN6hipcub23BlockHistogramAlgorithmE1EEyLj256ELj16ELj256ELj100EEvPKT0_PS4_,"axG",@progbits,_Z6kernelI9histogramILN6hipcub23BlockHistogramAlgorithmE1EEyLj256ELj16ELj256ELj100EEvPKT0_PS4_,comdat
	.protected	_Z6kernelI9histogramILN6hipcub23BlockHistogramAlgorithmE1EEyLj256ELj16ELj256ELj100EEvPKT0_PS4_ ; -- Begin function _Z6kernelI9histogramILN6hipcub23BlockHistogramAlgorithmE1EEyLj256ELj16ELj256ELj100EEvPKT0_PS4_
	.globl	_Z6kernelI9histogramILN6hipcub23BlockHistogramAlgorithmE1EEyLj256ELj16ELj256ELj100EEvPKT0_PS4_
	.p2align	8
	.type	_Z6kernelI9histogramILN6hipcub23BlockHistogramAlgorithmE1EEyLj256ELj16ELj256ELj100EEvPKT0_PS4_,@function
_Z6kernelI9histogramILN6hipcub23BlockHistogramAlgorithmE1EEyLj256ELj16ELj256ELj100EEvPKT0_PS4_: ; @_Z6kernelI9histogramILN6hipcub23BlockHistogramAlgorithmE1EEyLj256ELj16ELj256ELj100EEvPKT0_PS4_
; %bb.0:
	s_load_dwordx4 s[36:39], s[0:1], 0x0
	s_load_dword s3, s[0:1], 0x1c
	v_and_b32_e32 v34, 0x3ff, v0
	v_lshlrev_b32_e32 v35, 4, v34
	v_lshl_or_b32 v36, s2, 12, v35
	s_waitcnt lgkmcnt(0)
	v_mov_b32_e32 v2, s36
	v_mov_b32_e32 v3, s37
	;; [unrolled: 1-line block ×3, first 2 shown]
	v_lshl_add_u64 v[38:39], v[36:37], 3, v[2:3]
	global_load_dwordx4 v[2:5], v[38:39], off offset:48
	global_load_dwordx4 v[10:13], v[38:39], off offset:32
	global_load_dwordx4 v[18:21], v[38:39], off offset:16
	global_load_dwordx4 v[26:29], v[38:39], off
	global_load_dwordx4 v[6:9], v[38:39], off offset:112
	global_load_dwordx4 v[14:17], v[38:39], off offset:96
	;; [unrolled: 1-line block ×4, first 2 shown]
	v_mbcnt_lo_u32_b32 v1, -1, 0
	v_mbcnt_hi_u32_b32 v36, -1, v1
	s_movk_i32 s4, 0xc00
	v_and_or_b32 v1, v35, s4, v36
	v_lshlrev_b32_e32 v73, 3, v1
	s_lshr_b32 s4, s3, 16
	v_bfe_u32 v1, v0, 10, 10
	v_bfe_u32 v0, v0, 20, 10
	s_and_b32 s3, s3, 0xffff
	v_mad_u32_u24 v0, v0, s4, v1
	v_mad_u64_u32 v[0:1], s[4:5], v0, s3, v[34:35]
	v_lshrrev_b32_e32 v74, 6, v0
	v_and_b32_e32 v0, 15, v36
	v_and_b32_e32 v38, 0xc0, v34
	v_cmp_eq_u32_e64 s[30:31], 0, v0
	v_cmp_lt_u32_e64 s[4:5], 1, v0
	v_cmp_lt_u32_e64 s[6:7], 3, v0
	;; [unrolled: 1-line block ×3, first 2 shown]
	v_and_b32_e32 v0, 16, v36
	v_cmp_eq_u32_e64 s[10:11], 0, v0
	v_or_b32_e32 v0, 63, v38
	v_add_lshl_u32 v72, v36, v38, 7
	v_cmp_eq_u32_e64 s[14:15], v0, v34
	v_add_u32_e32 v0, -1, v36
	v_and_b32_e32 v38, 64, v36
	v_cmp_lt_i32_e32 vcc, v0, v38
	v_mad_i32_i24 v77, v34, -12, v35
	s_movk_i32 s3, 0x7c
	v_cndmask_b32_e32 v0, v0, v36, vcc
	v_lshlrev_b32_e32 v75, 2, v0
	v_lshrrev_b32_e32 v0, 4, v34
	v_and_b32_e32 v76, 12, v0
	v_and_b32_e32 v0, 3, v36
	s_mov_b32 s36, 0
	v_lshlrev_b32_e32 v1, 2, v34
	v_cmp_eq_u32_e64 s[26:27], 0, v0
	v_cmp_lt_u32_e64 s[28:29], 1, v0
	v_mad_u32_u24 v79, v34, s3, v77
	s_movk_i32 s3, 0xff88
	v_mov_b32_e32 v0, 0x8000
	s_movk_i32 s0, 0x100
	v_mad_i32_i24 v96, v34, s3, v79
	v_lshl_or_b32 v82, v34, 3, v0
	v_sub_u32_e32 v0, 0, v1
	s_mov_b32 s37, s36
	s_mov_b32 s34, s36
	;; [unrolled: 1-line block ×3, first 2 shown]
	v_cmp_gt_u32_e64 s[0:1], s0, v34
	v_cmp_lt_u32_e64 s[12:13], 31, v36
	v_cmp_gt_u32_e64 s[16:17], 4, v34
	v_cmp_lt_u32_e64 s[18:19], 63, v34
	v_cmp_eq_u32_e64 s[20:21], 0, v36
	v_cmp_eq_u32_e64 s[22:23], 0, v34
	v_cmp_ne_u32_e64 s[24:25], 0, v34
	v_add_u32_e32 v78, -4, v76
	v_or_b32_e32 v80, 1, v35
	v_or_b32_e32 v81, 2, v35
	;; [unrolled: 1-line block ×15, first 2 shown]
	v_add_u32_e32 v97, -8, v96
	v_mov_b64_e32 v[38:39], s[36:37]
	v_mov_b64_e32 v[40:41], s[34:35]
	v_mov_b32_e32 v98, 0x1000
	v_add_u32_e32 v99, v96, v0
	s_branch .LBB53_2
.LBB53_1:                               ;   in Loop: Header=BB53_2 Depth=1
	s_or_b64 exec, exec, s[34:35]
	s_add_i32 s36, s36, 1
	s_cmpk_eq_i32 s36, 0x64
	s_cbranch_scc1 .LBB53_85
.LBB53_2:                               ; =>This Loop Header: Depth=1
                                        ;     Child Loop BB53_6 Depth 2
	s_and_saveexec_b64 s[34:35], s[0:1]
	s_cbranch_execz .LBB53_4
; %bb.3:                                ;   in Loop: Header=BB53_2 Depth=1
	v_mov_b32_e32 v36, v37
	ds_write_b64 v82, v[36:37]
.LBB53_4:                               ;   in Loop: Header=BB53_2 Depth=1
	s_or_b64 exec, exec, s[34:35]
	s_waitcnt lgkmcnt(0)
	s_barrier
	s_waitcnt vmcnt(4)
	ds_write2_b64 v72, v[26:27], v[28:29] offset1:1
	ds_write2_b64 v72, v[18:19], v[20:21] offset0:2 offset1:3
	ds_write2_b64 v72, v[10:11], v[12:13] offset0:4 offset1:5
	;; [unrolled: 1-line block ×3, first 2 shown]
	s_waitcnt vmcnt(0)
	ds_write2_b64 v72, v[30:31], v[32:33] offset0:8 offset1:9
	ds_write2_b64 v72, v[22:23], v[24:25] offset0:10 offset1:11
	;; [unrolled: 1-line block ×4, first 2 shown]
	; wave barrier
	ds_read2st64_b64 v[0:3], v73 offset1:1
	ds_read2st64_b64 v[4:7], v73 offset0:2 offset1:3
	ds_read2st64_b64 v[8:11], v73 offset0:4 offset1:5
	ds_read2st64_b64 v[12:15], v73 offset0:6 offset1:7
	ds_read2st64_b64 v[16:19], v73 offset0:8 offset1:9
	ds_read2st64_b64 v[20:23], v73 offset0:10 offset1:11
	ds_read2st64_b64 v[24:27], v73 offset0:12 offset1:13
	ds_read2st64_b64 v[28:31], v73 offset0:14 offset1:15
	s_mov_b64 s[40:41], 0
	s_waitcnt lgkmcnt(0)
	s_barrier
	s_waitcnt lgkmcnt(0)
	; wave barrier
	s_barrier
	s_branch .LBB53_6
.LBB53_5:                               ;   in Loop: Header=BB53_6 Depth=2
	v_lshlrev_b32_e32 v0, 3, v124
	s_barrier
	ds_write_b64 v0, v[70:71]
	v_lshlrev_b32_e32 v0, 3, v123
	ds_write_b64 v0, v[68:69]
	v_lshlrev_b32_e32 v0, 3, v122
	;; [unrolled: 2-line block ×15, first 2 shown]
	ds_write_b64 v0, v[32:33]
	s_waitcnt lgkmcnt(0)
	s_barrier
	ds_read2st64_b64 v[0:3], v73 offset1:1
	ds_read2st64_b64 v[4:7], v73 offset0:2 offset1:3
	ds_read2st64_b64 v[8:11], v73 offset0:4 offset1:5
	;; [unrolled: 1-line block ×7, first 2 shown]
	s_add_u32 s40, s40, 8
	s_addc_u32 s41, s41, 0
	s_waitcnt lgkmcnt(0)
	s_barrier
	s_cbranch_execz .LBB53_46
.LBB53_6:                               ;   Parent Loop BB53_2 Depth=1
                                        ; =>  This Inner Loop Header: Depth=2
	v_mov_b64_e32 v[70:71], v[0:1]
	v_lshrrev_b64 v[0:1], s40, v[70:71]
	v_lshlrev_b32_e32 v1, 2, v0
	v_and_b32_e32 v36, 1, v0
	v_mov_b64_e32 v[68:69], v[2:3]
	v_and_b32_e32 v1, 0x3fc, v1
	v_lshl_add_u64 v[2:3], v[36:37], 0, -1
	v_cmp_ne_u32_e32 vcc, 0, v36
	v_add_u32_e32 v1, v1, v74
	v_mov_b64_e32 v[66:67], v[4:5]
	v_xor_b32_e32 v2, vcc_lo, v2
	v_lshl_add_u32 v4, v1, 2, 16
	v_xor_b32_e32 v1, vcc_hi, v3
	v_and_b32_e32 v5, exec_lo, v2
	v_lshlrev_b32_e32 v3, 30, v0
	v_mov_b32_e32 v2, v37
	v_cmp_gt_i64_e32 vcc, 0, v[2:3]
	v_not_b32_e32 v2, v3
	v_ashrrev_i32_e32 v2, 31, v2
	v_and_b32_e32 v1, exec_hi, v1
	v_xor_b32_e32 v3, vcc_hi, v2
	v_xor_b32_e32 v2, vcc_lo, v2
	v_and_b32_e32 v1, v1, v3
	v_and_b32_e32 v5, v5, v2
	v_lshlrev_b32_e32 v3, 29, v0
	v_mov_b32_e32 v2, v37
	v_cmp_gt_i64_e32 vcc, 0, v[2:3]
	v_not_b32_e32 v2, v3
	v_ashrrev_i32_e32 v2, 31, v2
	v_xor_b32_e32 v3, vcc_hi, v2
	v_xor_b32_e32 v2, vcc_lo, v2
	v_and_b32_e32 v1, v1, v3
	v_and_b32_e32 v5, v5, v2
	v_lshlrev_b32_e32 v3, 28, v0
	v_mov_b32_e32 v2, v37
	v_cmp_gt_i64_e32 vcc, 0, v[2:3]
	v_not_b32_e32 v2, v3
	v_ashrrev_i32_e32 v2, 31, v2
	;; [unrolled: 9-line block ×5, first 2 shown]
	v_xor_b32_e32 v3, vcc_hi, v2
	v_and_b32_e32 v3, v1, v3
	v_lshlrev_b32_e32 v1, 24, v0
	v_mov_b32_e32 v0, v37
	v_xor_b32_e32 v2, vcc_lo, v2
	v_cmp_gt_i64_e32 vcc, 0, v[0:1]
	v_not_b32_e32 v0, v1
	v_ashrrev_i32_e32 v0, 31, v0
	v_and_b32_e32 v2, v5, v2
	v_xor_b32_e32 v1, vcc_hi, v0
	v_xor_b32_e32 v0, vcc_lo, v0
	v_and_b32_e32 v0, v2, v0
	v_and_b32_e32 v1, v3, v1
	v_mbcnt_lo_u32_b32 v2, v0, 0
	v_mbcnt_hi_u32_b32 v5, v1, v2
	v_cmp_eq_u32_e32 vcc, 0, v5
	v_cmp_ne_u64_e64 s[34:35], 0, v[0:1]
	v_mov_b64_e32 v[64:65], v[6:7]
	v_mov_b64_e32 v[62:63], v[8:9]
	;; [unrolled: 1-line block ×13, first 2 shown]
	s_and_b64 s[42:43], s[34:35], vcc
	ds_write2_b64 v35, v[38:39], v[40:41] offset0:2 offset1:3
	s_waitcnt lgkmcnt(0)
	s_barrier
	s_waitcnt lgkmcnt(0)
	; wave barrier
	s_and_saveexec_b64 s[34:35], s[42:43]
	s_cbranch_execz .LBB53_8
; %bb.7:                                ;   in Loop: Header=BB53_6 Depth=2
	v_bcnt_u32_b32 v0, v0, 0
	v_bcnt_u32_b32 v0, v1, v0
	ds_write_b32 v4, v0
.LBB53_8:                               ;   in Loop: Header=BB53_6 Depth=2
	s_or_b64 exec, exec, s[34:35]
	v_lshrrev_b64 v[0:1], s40, v[68:69]
	v_lshlrev_b32_e32 v1, 2, v0
	v_and_b32_e32 v36, 1, v0
	v_and_b32_e32 v1, 0x3fc, v1
	v_lshl_add_u64 v[2:3], v[36:37], 0, -1
	v_cmp_ne_u32_e32 vcc, 0, v36
	v_add_lshl_u32 v1, v1, v74, 2
	s_nop 0
	v_xor_b32_e32 v2, vcc_lo, v2
	; wave barrier
	v_add_u32_e32 v7, 16, v1
	ds_read_b32 v6, v1 offset:16
	v_xor_b32_e32 v1, vcc_hi, v3
	v_and_b32_e32 v8, exec_lo, v2
	v_lshlrev_b32_e32 v3, 30, v0
	v_mov_b32_e32 v2, v37
	v_cmp_gt_i64_e32 vcc, 0, v[2:3]
	v_not_b32_e32 v2, v3
	v_ashrrev_i32_e32 v2, 31, v2
	v_and_b32_e32 v1, exec_hi, v1
	v_xor_b32_e32 v3, vcc_hi, v2
	v_xor_b32_e32 v2, vcc_lo, v2
	v_and_b32_e32 v1, v1, v3
	v_and_b32_e32 v8, v8, v2
	v_lshlrev_b32_e32 v3, 29, v0
	v_mov_b32_e32 v2, v37
	v_cmp_gt_i64_e32 vcc, 0, v[2:3]
	v_not_b32_e32 v2, v3
	v_ashrrev_i32_e32 v2, 31, v2
	v_xor_b32_e32 v3, vcc_hi, v2
	v_xor_b32_e32 v2, vcc_lo, v2
	v_and_b32_e32 v1, v1, v3
	v_and_b32_e32 v8, v8, v2
	v_lshlrev_b32_e32 v3, 28, v0
	v_mov_b32_e32 v2, v37
	v_cmp_gt_i64_e32 vcc, 0, v[2:3]
	v_not_b32_e32 v2, v3
	v_ashrrev_i32_e32 v2, 31, v2
	;; [unrolled: 9-line block ×5, first 2 shown]
	v_xor_b32_e32 v3, vcc_hi, v2
	v_and_b32_e32 v3, v1, v3
	v_lshlrev_b32_e32 v1, 24, v0
	v_mov_b32_e32 v0, v37
	v_xor_b32_e32 v2, vcc_lo, v2
	v_cmp_gt_i64_e32 vcc, 0, v[0:1]
	v_not_b32_e32 v0, v1
	v_ashrrev_i32_e32 v0, 31, v0
	v_and_b32_e32 v2, v8, v2
	v_xor_b32_e32 v1, vcc_hi, v0
	v_xor_b32_e32 v0, vcc_lo, v0
	v_and_b32_e32 v0, v2, v0
	v_and_b32_e32 v1, v3, v1
	v_mbcnt_lo_u32_b32 v2, v0, 0
	v_mbcnt_hi_u32_b32 v8, v1, v2
	v_cmp_eq_u32_e32 vcc, 0, v8
	v_cmp_ne_u64_e64 s[34:35], 0, v[0:1]
	s_and_b64 s[42:43], s[34:35], vcc
	; wave barrier
	s_and_saveexec_b64 s[34:35], s[42:43]
	s_cbranch_execz .LBB53_10
; %bb.9:                                ;   in Loop: Header=BB53_6 Depth=2
	v_bcnt_u32_b32 v0, v0, 0
	v_bcnt_u32_b32 v0, v1, v0
	s_waitcnt lgkmcnt(0)
	v_add_u32_e32 v0, v6, v0
	ds_write_b32 v7, v0
.LBB53_10:                              ;   in Loop: Header=BB53_6 Depth=2
	s_or_b64 exec, exec, s[34:35]
	v_lshrrev_b64 v[0:1], s40, v[66:67]
	v_lshlrev_b32_e32 v1, 2, v0
	v_and_b32_e32 v36, 1, v0
	v_and_b32_e32 v1, 0x3fc, v1
	v_lshl_add_u64 v[2:3], v[36:37], 0, -1
	v_cmp_ne_u32_e32 vcc, 0, v36
	v_add_lshl_u32 v1, v1, v74, 2
	s_nop 0
	v_xor_b32_e32 v2, vcc_lo, v2
	; wave barrier
	v_add_u32_e32 v10, 16, v1
	ds_read_b32 v9, v1 offset:16
	v_xor_b32_e32 v1, vcc_hi, v3
	v_and_b32_e32 v11, exec_lo, v2
	v_lshlrev_b32_e32 v3, 30, v0
	v_mov_b32_e32 v2, v37
	v_cmp_gt_i64_e32 vcc, 0, v[2:3]
	v_not_b32_e32 v2, v3
	v_ashrrev_i32_e32 v2, 31, v2
	v_and_b32_e32 v1, exec_hi, v1
	v_xor_b32_e32 v3, vcc_hi, v2
	v_xor_b32_e32 v2, vcc_lo, v2
	v_and_b32_e32 v1, v1, v3
	v_and_b32_e32 v11, v11, v2
	v_lshlrev_b32_e32 v3, 29, v0
	v_mov_b32_e32 v2, v37
	v_cmp_gt_i64_e32 vcc, 0, v[2:3]
	v_not_b32_e32 v2, v3
	v_ashrrev_i32_e32 v2, 31, v2
	v_xor_b32_e32 v3, vcc_hi, v2
	v_xor_b32_e32 v2, vcc_lo, v2
	v_and_b32_e32 v1, v1, v3
	v_and_b32_e32 v11, v11, v2
	v_lshlrev_b32_e32 v3, 28, v0
	v_mov_b32_e32 v2, v37
	v_cmp_gt_i64_e32 vcc, 0, v[2:3]
	v_not_b32_e32 v2, v3
	v_ashrrev_i32_e32 v2, 31, v2
	;; [unrolled: 9-line block ×5, first 2 shown]
	v_xor_b32_e32 v3, vcc_hi, v2
	v_and_b32_e32 v3, v1, v3
	v_lshlrev_b32_e32 v1, 24, v0
	v_mov_b32_e32 v0, v37
	v_xor_b32_e32 v2, vcc_lo, v2
	v_cmp_gt_i64_e32 vcc, 0, v[0:1]
	v_not_b32_e32 v0, v1
	v_ashrrev_i32_e32 v0, 31, v0
	v_and_b32_e32 v2, v11, v2
	v_xor_b32_e32 v1, vcc_hi, v0
	v_xor_b32_e32 v0, vcc_lo, v0
	v_and_b32_e32 v0, v2, v0
	v_and_b32_e32 v1, v3, v1
	v_mbcnt_lo_u32_b32 v2, v0, 0
	v_mbcnt_hi_u32_b32 v11, v1, v2
	v_cmp_eq_u32_e32 vcc, 0, v11
	v_cmp_ne_u64_e64 s[34:35], 0, v[0:1]
	s_and_b64 s[42:43], s[34:35], vcc
	; wave barrier
	s_and_saveexec_b64 s[34:35], s[42:43]
	s_cbranch_execz .LBB53_12
; %bb.11:                               ;   in Loop: Header=BB53_6 Depth=2
	v_bcnt_u32_b32 v0, v0, 0
	v_bcnt_u32_b32 v0, v1, v0
	s_waitcnt lgkmcnt(0)
	v_add_u32_e32 v0, v9, v0
	ds_write_b32 v10, v0
.LBB53_12:                              ;   in Loop: Header=BB53_6 Depth=2
	s_or_b64 exec, exec, s[34:35]
	v_lshrrev_b64 v[0:1], s40, v[64:65]
	v_lshlrev_b32_e32 v1, 2, v0
	v_and_b32_e32 v36, 1, v0
	v_and_b32_e32 v1, 0x3fc, v1
	v_lshl_add_u64 v[2:3], v[36:37], 0, -1
	v_cmp_ne_u32_e32 vcc, 0, v36
	v_add_lshl_u32 v1, v1, v74, 2
	s_nop 0
	v_xor_b32_e32 v2, vcc_lo, v2
	; wave barrier
	v_add_u32_e32 v13, 16, v1
	ds_read_b32 v12, v1 offset:16
	v_xor_b32_e32 v1, vcc_hi, v3
	v_and_b32_e32 v14, exec_lo, v2
	v_lshlrev_b32_e32 v3, 30, v0
	v_mov_b32_e32 v2, v37
	v_cmp_gt_i64_e32 vcc, 0, v[2:3]
	v_not_b32_e32 v2, v3
	v_ashrrev_i32_e32 v2, 31, v2
	v_and_b32_e32 v1, exec_hi, v1
	v_xor_b32_e32 v3, vcc_hi, v2
	v_xor_b32_e32 v2, vcc_lo, v2
	v_and_b32_e32 v1, v1, v3
	v_and_b32_e32 v14, v14, v2
	v_lshlrev_b32_e32 v3, 29, v0
	v_mov_b32_e32 v2, v37
	v_cmp_gt_i64_e32 vcc, 0, v[2:3]
	v_not_b32_e32 v2, v3
	v_ashrrev_i32_e32 v2, 31, v2
	v_xor_b32_e32 v3, vcc_hi, v2
	v_xor_b32_e32 v2, vcc_lo, v2
	v_and_b32_e32 v1, v1, v3
	v_and_b32_e32 v14, v14, v2
	v_lshlrev_b32_e32 v3, 28, v0
	v_mov_b32_e32 v2, v37
	v_cmp_gt_i64_e32 vcc, 0, v[2:3]
	v_not_b32_e32 v2, v3
	v_ashrrev_i32_e32 v2, 31, v2
	;; [unrolled: 9-line block ×5, first 2 shown]
	v_xor_b32_e32 v3, vcc_hi, v2
	v_and_b32_e32 v3, v1, v3
	v_lshlrev_b32_e32 v1, 24, v0
	v_mov_b32_e32 v0, v37
	v_xor_b32_e32 v2, vcc_lo, v2
	v_cmp_gt_i64_e32 vcc, 0, v[0:1]
	v_not_b32_e32 v0, v1
	v_ashrrev_i32_e32 v0, 31, v0
	v_and_b32_e32 v2, v14, v2
	v_xor_b32_e32 v1, vcc_hi, v0
	v_xor_b32_e32 v0, vcc_lo, v0
	v_and_b32_e32 v0, v2, v0
	v_and_b32_e32 v1, v3, v1
	v_mbcnt_lo_u32_b32 v2, v0, 0
	v_mbcnt_hi_u32_b32 v14, v1, v2
	v_cmp_eq_u32_e32 vcc, 0, v14
	v_cmp_ne_u64_e64 s[34:35], 0, v[0:1]
	s_and_b64 s[42:43], s[34:35], vcc
	; wave barrier
	s_and_saveexec_b64 s[34:35], s[42:43]
	s_cbranch_execz .LBB53_14
; %bb.13:                               ;   in Loop: Header=BB53_6 Depth=2
	v_bcnt_u32_b32 v0, v0, 0
	v_bcnt_u32_b32 v0, v1, v0
	s_waitcnt lgkmcnt(0)
	v_add_u32_e32 v0, v12, v0
	ds_write_b32 v13, v0
.LBB53_14:                              ;   in Loop: Header=BB53_6 Depth=2
	s_or_b64 exec, exec, s[34:35]
	v_lshrrev_b64 v[0:1], s40, v[62:63]
	v_lshlrev_b32_e32 v1, 2, v0
	v_and_b32_e32 v36, 1, v0
	v_and_b32_e32 v1, 0x3fc, v1
	v_lshl_add_u64 v[2:3], v[36:37], 0, -1
	v_cmp_ne_u32_e32 vcc, 0, v36
	v_add_lshl_u32 v1, v1, v74, 2
	s_nop 0
	v_xor_b32_e32 v2, vcc_lo, v2
	; wave barrier
	v_add_u32_e32 v16, 16, v1
	ds_read_b32 v15, v1 offset:16
	v_xor_b32_e32 v1, vcc_hi, v3
	v_and_b32_e32 v17, exec_lo, v2
	v_lshlrev_b32_e32 v3, 30, v0
	v_mov_b32_e32 v2, v37
	v_cmp_gt_i64_e32 vcc, 0, v[2:3]
	v_not_b32_e32 v2, v3
	v_ashrrev_i32_e32 v2, 31, v2
	v_and_b32_e32 v1, exec_hi, v1
	v_xor_b32_e32 v3, vcc_hi, v2
	v_xor_b32_e32 v2, vcc_lo, v2
	v_and_b32_e32 v1, v1, v3
	v_and_b32_e32 v17, v17, v2
	v_lshlrev_b32_e32 v3, 29, v0
	v_mov_b32_e32 v2, v37
	v_cmp_gt_i64_e32 vcc, 0, v[2:3]
	v_not_b32_e32 v2, v3
	v_ashrrev_i32_e32 v2, 31, v2
	v_xor_b32_e32 v3, vcc_hi, v2
	v_xor_b32_e32 v2, vcc_lo, v2
	v_and_b32_e32 v1, v1, v3
	v_and_b32_e32 v17, v17, v2
	v_lshlrev_b32_e32 v3, 28, v0
	v_mov_b32_e32 v2, v37
	v_cmp_gt_i64_e32 vcc, 0, v[2:3]
	v_not_b32_e32 v2, v3
	v_ashrrev_i32_e32 v2, 31, v2
	;; [unrolled: 9-line block ×5, first 2 shown]
	v_xor_b32_e32 v3, vcc_hi, v2
	v_and_b32_e32 v3, v1, v3
	v_lshlrev_b32_e32 v1, 24, v0
	v_mov_b32_e32 v0, v37
	v_xor_b32_e32 v2, vcc_lo, v2
	v_cmp_gt_i64_e32 vcc, 0, v[0:1]
	v_not_b32_e32 v0, v1
	v_ashrrev_i32_e32 v0, 31, v0
	v_and_b32_e32 v2, v17, v2
	v_xor_b32_e32 v1, vcc_hi, v0
	v_xor_b32_e32 v0, vcc_lo, v0
	v_and_b32_e32 v0, v2, v0
	v_and_b32_e32 v1, v3, v1
	v_mbcnt_lo_u32_b32 v2, v0, 0
	v_mbcnt_hi_u32_b32 v17, v1, v2
	v_cmp_eq_u32_e32 vcc, 0, v17
	v_cmp_ne_u64_e64 s[34:35], 0, v[0:1]
	s_and_b64 s[42:43], s[34:35], vcc
	; wave barrier
	s_and_saveexec_b64 s[34:35], s[42:43]
	s_cbranch_execz .LBB53_16
; %bb.15:                               ;   in Loop: Header=BB53_6 Depth=2
	v_bcnt_u32_b32 v0, v0, 0
	v_bcnt_u32_b32 v0, v1, v0
	s_waitcnt lgkmcnt(0)
	v_add_u32_e32 v0, v15, v0
	ds_write_b32 v16, v0
.LBB53_16:                              ;   in Loop: Header=BB53_6 Depth=2
	s_or_b64 exec, exec, s[34:35]
	v_lshrrev_b64 v[0:1], s40, v[60:61]
	v_lshlrev_b32_e32 v1, 2, v0
	v_and_b32_e32 v36, 1, v0
	v_and_b32_e32 v1, 0x3fc, v1
	v_lshl_add_u64 v[2:3], v[36:37], 0, -1
	v_cmp_ne_u32_e32 vcc, 0, v36
	v_add_lshl_u32 v1, v1, v74, 2
	s_nop 0
	v_xor_b32_e32 v2, vcc_lo, v2
	; wave barrier
	v_add_u32_e32 v19, 16, v1
	ds_read_b32 v18, v1 offset:16
	v_xor_b32_e32 v1, vcc_hi, v3
	v_and_b32_e32 v20, exec_lo, v2
	v_lshlrev_b32_e32 v3, 30, v0
	v_mov_b32_e32 v2, v37
	v_cmp_gt_i64_e32 vcc, 0, v[2:3]
	v_not_b32_e32 v2, v3
	v_ashrrev_i32_e32 v2, 31, v2
	v_and_b32_e32 v1, exec_hi, v1
	v_xor_b32_e32 v3, vcc_hi, v2
	v_xor_b32_e32 v2, vcc_lo, v2
	v_and_b32_e32 v1, v1, v3
	v_and_b32_e32 v20, v20, v2
	v_lshlrev_b32_e32 v3, 29, v0
	v_mov_b32_e32 v2, v37
	v_cmp_gt_i64_e32 vcc, 0, v[2:3]
	v_not_b32_e32 v2, v3
	v_ashrrev_i32_e32 v2, 31, v2
	v_xor_b32_e32 v3, vcc_hi, v2
	v_xor_b32_e32 v2, vcc_lo, v2
	v_and_b32_e32 v1, v1, v3
	v_and_b32_e32 v20, v20, v2
	v_lshlrev_b32_e32 v3, 28, v0
	v_mov_b32_e32 v2, v37
	v_cmp_gt_i64_e32 vcc, 0, v[2:3]
	v_not_b32_e32 v2, v3
	v_ashrrev_i32_e32 v2, 31, v2
	;; [unrolled: 9-line block ×5, first 2 shown]
	v_xor_b32_e32 v3, vcc_hi, v2
	v_and_b32_e32 v3, v1, v3
	v_lshlrev_b32_e32 v1, 24, v0
	v_mov_b32_e32 v0, v37
	v_xor_b32_e32 v2, vcc_lo, v2
	v_cmp_gt_i64_e32 vcc, 0, v[0:1]
	v_not_b32_e32 v0, v1
	v_ashrrev_i32_e32 v0, 31, v0
	v_and_b32_e32 v2, v20, v2
	v_xor_b32_e32 v1, vcc_hi, v0
	v_xor_b32_e32 v0, vcc_lo, v0
	v_and_b32_e32 v0, v2, v0
	v_and_b32_e32 v1, v3, v1
	v_mbcnt_lo_u32_b32 v2, v0, 0
	v_mbcnt_hi_u32_b32 v20, v1, v2
	v_cmp_eq_u32_e32 vcc, 0, v20
	v_cmp_ne_u64_e64 s[34:35], 0, v[0:1]
	s_and_b64 s[42:43], s[34:35], vcc
	; wave barrier
	s_and_saveexec_b64 s[34:35], s[42:43]
	s_cbranch_execz .LBB53_18
; %bb.17:                               ;   in Loop: Header=BB53_6 Depth=2
	v_bcnt_u32_b32 v0, v0, 0
	v_bcnt_u32_b32 v0, v1, v0
	s_waitcnt lgkmcnt(0)
	v_add_u32_e32 v0, v18, v0
	ds_write_b32 v19, v0
.LBB53_18:                              ;   in Loop: Header=BB53_6 Depth=2
	s_or_b64 exec, exec, s[34:35]
	v_lshrrev_b64 v[0:1], s40, v[58:59]
	v_lshlrev_b32_e32 v1, 2, v0
	v_and_b32_e32 v36, 1, v0
	v_and_b32_e32 v1, 0x3fc, v1
	v_lshl_add_u64 v[2:3], v[36:37], 0, -1
	v_cmp_ne_u32_e32 vcc, 0, v36
	v_add_lshl_u32 v1, v1, v74, 2
	s_nop 0
	v_xor_b32_e32 v2, vcc_lo, v2
	; wave barrier
	v_add_u32_e32 v22, 16, v1
	ds_read_b32 v21, v1 offset:16
	v_xor_b32_e32 v1, vcc_hi, v3
	v_and_b32_e32 v23, exec_lo, v2
	v_lshlrev_b32_e32 v3, 30, v0
	v_mov_b32_e32 v2, v37
	v_cmp_gt_i64_e32 vcc, 0, v[2:3]
	v_not_b32_e32 v2, v3
	v_ashrrev_i32_e32 v2, 31, v2
	v_and_b32_e32 v1, exec_hi, v1
	v_xor_b32_e32 v3, vcc_hi, v2
	v_xor_b32_e32 v2, vcc_lo, v2
	v_and_b32_e32 v1, v1, v3
	v_and_b32_e32 v23, v23, v2
	v_lshlrev_b32_e32 v3, 29, v0
	v_mov_b32_e32 v2, v37
	v_cmp_gt_i64_e32 vcc, 0, v[2:3]
	v_not_b32_e32 v2, v3
	v_ashrrev_i32_e32 v2, 31, v2
	v_xor_b32_e32 v3, vcc_hi, v2
	v_xor_b32_e32 v2, vcc_lo, v2
	v_and_b32_e32 v1, v1, v3
	v_and_b32_e32 v23, v23, v2
	v_lshlrev_b32_e32 v3, 28, v0
	v_mov_b32_e32 v2, v37
	v_cmp_gt_i64_e32 vcc, 0, v[2:3]
	v_not_b32_e32 v2, v3
	v_ashrrev_i32_e32 v2, 31, v2
	;; [unrolled: 9-line block ×5, first 2 shown]
	v_xor_b32_e32 v3, vcc_hi, v2
	v_and_b32_e32 v3, v1, v3
	v_lshlrev_b32_e32 v1, 24, v0
	v_mov_b32_e32 v0, v37
	v_xor_b32_e32 v2, vcc_lo, v2
	v_cmp_gt_i64_e32 vcc, 0, v[0:1]
	v_not_b32_e32 v0, v1
	v_ashrrev_i32_e32 v0, 31, v0
	v_and_b32_e32 v2, v23, v2
	v_xor_b32_e32 v1, vcc_hi, v0
	v_xor_b32_e32 v0, vcc_lo, v0
	v_and_b32_e32 v0, v2, v0
	v_and_b32_e32 v1, v3, v1
	v_mbcnt_lo_u32_b32 v2, v0, 0
	v_mbcnt_hi_u32_b32 v23, v1, v2
	v_cmp_eq_u32_e32 vcc, 0, v23
	v_cmp_ne_u64_e64 s[34:35], 0, v[0:1]
	s_and_b64 s[42:43], s[34:35], vcc
	; wave barrier
	s_and_saveexec_b64 s[34:35], s[42:43]
	s_cbranch_execz .LBB53_20
; %bb.19:                               ;   in Loop: Header=BB53_6 Depth=2
	v_bcnt_u32_b32 v0, v0, 0
	v_bcnt_u32_b32 v0, v1, v0
	s_waitcnt lgkmcnt(0)
	v_add_u32_e32 v0, v21, v0
	ds_write_b32 v22, v0
.LBB53_20:                              ;   in Loop: Header=BB53_6 Depth=2
	s_or_b64 exec, exec, s[34:35]
	v_lshrrev_b64 v[0:1], s40, v[56:57]
	v_lshlrev_b32_e32 v1, 2, v0
	v_and_b32_e32 v36, 1, v0
	v_and_b32_e32 v1, 0x3fc, v1
	v_lshl_add_u64 v[2:3], v[36:37], 0, -1
	v_cmp_ne_u32_e32 vcc, 0, v36
	v_add_lshl_u32 v1, v1, v74, 2
	s_nop 0
	v_xor_b32_e32 v2, vcc_lo, v2
	; wave barrier
	v_add_u32_e32 v25, 16, v1
	ds_read_b32 v24, v1 offset:16
	v_xor_b32_e32 v1, vcc_hi, v3
	v_and_b32_e32 v26, exec_lo, v2
	v_lshlrev_b32_e32 v3, 30, v0
	v_mov_b32_e32 v2, v37
	v_cmp_gt_i64_e32 vcc, 0, v[2:3]
	v_not_b32_e32 v2, v3
	v_ashrrev_i32_e32 v2, 31, v2
	v_and_b32_e32 v1, exec_hi, v1
	v_xor_b32_e32 v3, vcc_hi, v2
	v_xor_b32_e32 v2, vcc_lo, v2
	v_and_b32_e32 v1, v1, v3
	v_and_b32_e32 v26, v26, v2
	v_lshlrev_b32_e32 v3, 29, v0
	v_mov_b32_e32 v2, v37
	v_cmp_gt_i64_e32 vcc, 0, v[2:3]
	v_not_b32_e32 v2, v3
	v_ashrrev_i32_e32 v2, 31, v2
	v_xor_b32_e32 v3, vcc_hi, v2
	v_xor_b32_e32 v2, vcc_lo, v2
	v_and_b32_e32 v1, v1, v3
	v_and_b32_e32 v26, v26, v2
	v_lshlrev_b32_e32 v3, 28, v0
	v_mov_b32_e32 v2, v37
	v_cmp_gt_i64_e32 vcc, 0, v[2:3]
	v_not_b32_e32 v2, v3
	v_ashrrev_i32_e32 v2, 31, v2
	;; [unrolled: 9-line block ×5, first 2 shown]
	v_xor_b32_e32 v3, vcc_hi, v2
	v_and_b32_e32 v3, v1, v3
	v_lshlrev_b32_e32 v1, 24, v0
	v_mov_b32_e32 v0, v37
	v_xor_b32_e32 v2, vcc_lo, v2
	v_cmp_gt_i64_e32 vcc, 0, v[0:1]
	v_not_b32_e32 v0, v1
	v_ashrrev_i32_e32 v0, 31, v0
	v_and_b32_e32 v2, v26, v2
	v_xor_b32_e32 v1, vcc_hi, v0
	v_xor_b32_e32 v0, vcc_lo, v0
	v_and_b32_e32 v0, v2, v0
	v_and_b32_e32 v1, v3, v1
	v_mbcnt_lo_u32_b32 v2, v0, 0
	v_mbcnt_hi_u32_b32 v26, v1, v2
	v_cmp_eq_u32_e32 vcc, 0, v26
	v_cmp_ne_u64_e64 s[34:35], 0, v[0:1]
	s_and_b64 s[42:43], s[34:35], vcc
	; wave barrier
	s_and_saveexec_b64 s[34:35], s[42:43]
	s_cbranch_execz .LBB53_22
; %bb.21:                               ;   in Loop: Header=BB53_6 Depth=2
	v_bcnt_u32_b32 v0, v0, 0
	v_bcnt_u32_b32 v0, v1, v0
	s_waitcnt lgkmcnt(0)
	v_add_u32_e32 v0, v24, v0
	ds_write_b32 v25, v0
.LBB53_22:                              ;   in Loop: Header=BB53_6 Depth=2
	s_or_b64 exec, exec, s[34:35]
	v_lshrrev_b64 v[0:1], s40, v[54:55]
	v_lshlrev_b32_e32 v1, 2, v0
	v_and_b32_e32 v36, 1, v0
	v_and_b32_e32 v1, 0x3fc, v1
	v_lshl_add_u64 v[2:3], v[36:37], 0, -1
	v_cmp_ne_u32_e32 vcc, 0, v36
	v_add_lshl_u32 v1, v1, v74, 2
	s_nop 0
	v_xor_b32_e32 v2, vcc_lo, v2
	; wave barrier
	v_add_u32_e32 v28, 16, v1
	ds_read_b32 v27, v1 offset:16
	v_xor_b32_e32 v1, vcc_hi, v3
	v_and_b32_e32 v29, exec_lo, v2
	v_lshlrev_b32_e32 v3, 30, v0
	v_mov_b32_e32 v2, v37
	v_cmp_gt_i64_e32 vcc, 0, v[2:3]
	v_not_b32_e32 v2, v3
	v_ashrrev_i32_e32 v2, 31, v2
	v_and_b32_e32 v1, exec_hi, v1
	v_xor_b32_e32 v3, vcc_hi, v2
	v_xor_b32_e32 v2, vcc_lo, v2
	v_and_b32_e32 v1, v1, v3
	v_and_b32_e32 v29, v29, v2
	v_lshlrev_b32_e32 v3, 29, v0
	v_mov_b32_e32 v2, v37
	v_cmp_gt_i64_e32 vcc, 0, v[2:3]
	v_not_b32_e32 v2, v3
	v_ashrrev_i32_e32 v2, 31, v2
	v_xor_b32_e32 v3, vcc_hi, v2
	v_xor_b32_e32 v2, vcc_lo, v2
	v_and_b32_e32 v1, v1, v3
	v_and_b32_e32 v29, v29, v2
	v_lshlrev_b32_e32 v3, 28, v0
	v_mov_b32_e32 v2, v37
	v_cmp_gt_i64_e32 vcc, 0, v[2:3]
	v_not_b32_e32 v2, v3
	v_ashrrev_i32_e32 v2, 31, v2
	;; [unrolled: 9-line block ×5, first 2 shown]
	v_xor_b32_e32 v3, vcc_hi, v2
	v_and_b32_e32 v3, v1, v3
	v_lshlrev_b32_e32 v1, 24, v0
	v_mov_b32_e32 v0, v37
	v_xor_b32_e32 v2, vcc_lo, v2
	v_cmp_gt_i64_e32 vcc, 0, v[0:1]
	v_not_b32_e32 v0, v1
	v_ashrrev_i32_e32 v0, 31, v0
	v_and_b32_e32 v2, v29, v2
	v_xor_b32_e32 v1, vcc_hi, v0
	v_xor_b32_e32 v0, vcc_lo, v0
	v_and_b32_e32 v0, v2, v0
	v_and_b32_e32 v1, v3, v1
	v_mbcnt_lo_u32_b32 v2, v0, 0
	v_mbcnt_hi_u32_b32 v29, v1, v2
	v_cmp_eq_u32_e32 vcc, 0, v29
	v_cmp_ne_u64_e64 s[34:35], 0, v[0:1]
	s_and_b64 s[42:43], s[34:35], vcc
	; wave barrier
	s_and_saveexec_b64 s[34:35], s[42:43]
	s_cbranch_execz .LBB53_24
; %bb.23:                               ;   in Loop: Header=BB53_6 Depth=2
	v_bcnt_u32_b32 v0, v0, 0
	v_bcnt_u32_b32 v0, v1, v0
	s_waitcnt lgkmcnt(0)
	v_add_u32_e32 v0, v27, v0
	ds_write_b32 v28, v0
.LBB53_24:                              ;   in Loop: Header=BB53_6 Depth=2
	s_or_b64 exec, exec, s[34:35]
	v_lshrrev_b64 v[0:1], s40, v[52:53]
	v_lshlrev_b32_e32 v1, 2, v0
	v_and_b32_e32 v36, 1, v0
	v_and_b32_e32 v1, 0x3fc, v1
	v_lshl_add_u64 v[2:3], v[36:37], 0, -1
	v_cmp_ne_u32_e32 vcc, 0, v36
	v_add_lshl_u32 v1, v1, v74, 2
	s_nop 0
	v_xor_b32_e32 v2, vcc_lo, v2
	; wave barrier
	v_add_u32_e32 v31, 16, v1
	ds_read_b32 v30, v1 offset:16
	v_xor_b32_e32 v1, vcc_hi, v3
	v_and_b32_e32 v36, exec_lo, v2
	v_lshlrev_b32_e32 v3, 30, v0
	v_mov_b32_e32 v2, v37
	v_cmp_gt_i64_e32 vcc, 0, v[2:3]
	v_not_b32_e32 v2, v3
	v_ashrrev_i32_e32 v2, 31, v2
	v_and_b32_e32 v1, exec_hi, v1
	v_xor_b32_e32 v3, vcc_hi, v2
	v_xor_b32_e32 v2, vcc_lo, v2
	v_and_b32_e32 v1, v1, v3
	v_and_b32_e32 v36, v36, v2
	v_lshlrev_b32_e32 v3, 29, v0
	v_mov_b32_e32 v2, v37
	v_cmp_gt_i64_e32 vcc, 0, v[2:3]
	v_not_b32_e32 v2, v3
	v_ashrrev_i32_e32 v2, 31, v2
	v_xor_b32_e32 v3, vcc_hi, v2
	v_xor_b32_e32 v2, vcc_lo, v2
	v_and_b32_e32 v1, v1, v3
	v_and_b32_e32 v36, v36, v2
	v_lshlrev_b32_e32 v3, 28, v0
	v_mov_b32_e32 v2, v37
	v_cmp_gt_i64_e32 vcc, 0, v[2:3]
	v_not_b32_e32 v2, v3
	v_ashrrev_i32_e32 v2, 31, v2
	;; [unrolled: 9-line block ×5, first 2 shown]
	v_xor_b32_e32 v3, vcc_hi, v2
	v_and_b32_e32 v3, v1, v3
	v_lshlrev_b32_e32 v1, 24, v0
	v_mov_b32_e32 v0, v37
	v_xor_b32_e32 v2, vcc_lo, v2
	v_cmp_gt_i64_e32 vcc, 0, v[0:1]
	v_not_b32_e32 v0, v1
	v_ashrrev_i32_e32 v0, 31, v0
	v_and_b32_e32 v2, v36, v2
	v_xor_b32_e32 v1, vcc_hi, v0
	v_xor_b32_e32 v0, vcc_lo, v0
	v_and_b32_e32 v0, v2, v0
	v_and_b32_e32 v1, v3, v1
	v_mbcnt_lo_u32_b32 v2, v0, 0
	v_mbcnt_hi_u32_b32 v100, v1, v2
	v_cmp_eq_u32_e32 vcc, 0, v100
	v_cmp_ne_u64_e64 s[34:35], 0, v[0:1]
	s_and_b64 s[42:43], s[34:35], vcc
	; wave barrier
	s_and_saveexec_b64 s[34:35], s[42:43]
	s_cbranch_execz .LBB53_26
; %bb.25:                               ;   in Loop: Header=BB53_6 Depth=2
	v_bcnt_u32_b32 v0, v0, 0
	v_bcnt_u32_b32 v0, v1, v0
	s_waitcnt lgkmcnt(0)
	v_add_u32_e32 v0, v30, v0
	ds_write_b32 v31, v0
.LBB53_26:                              ;   in Loop: Header=BB53_6 Depth=2
	s_or_b64 exec, exec, s[34:35]
	v_lshrrev_b64 v[0:1], s40, v[50:51]
	v_lshlrev_b32_e32 v1, 2, v0
	v_and_b32_e32 v36, 1, v0
	v_and_b32_e32 v1, 0x3fc, v1
	v_lshl_add_u64 v[2:3], v[36:37], 0, -1
	v_cmp_ne_u32_e32 vcc, 0, v36
	v_add_lshl_u32 v1, v1, v74, 2
	s_nop 0
	v_xor_b32_e32 v2, vcc_lo, v2
	; wave barrier
	v_add_u32_e32 v102, 16, v1
	ds_read_b32 v101, v1 offset:16
	v_xor_b32_e32 v1, vcc_hi, v3
	v_and_b32_e32 v36, exec_lo, v2
	v_lshlrev_b32_e32 v3, 30, v0
	v_mov_b32_e32 v2, v37
	v_cmp_gt_i64_e32 vcc, 0, v[2:3]
	v_not_b32_e32 v2, v3
	v_ashrrev_i32_e32 v2, 31, v2
	v_and_b32_e32 v1, exec_hi, v1
	v_xor_b32_e32 v3, vcc_hi, v2
	v_xor_b32_e32 v2, vcc_lo, v2
	v_and_b32_e32 v1, v1, v3
	v_and_b32_e32 v36, v36, v2
	v_lshlrev_b32_e32 v3, 29, v0
	v_mov_b32_e32 v2, v37
	v_cmp_gt_i64_e32 vcc, 0, v[2:3]
	v_not_b32_e32 v2, v3
	v_ashrrev_i32_e32 v2, 31, v2
	v_xor_b32_e32 v3, vcc_hi, v2
	v_xor_b32_e32 v2, vcc_lo, v2
	v_and_b32_e32 v1, v1, v3
	v_and_b32_e32 v36, v36, v2
	v_lshlrev_b32_e32 v3, 28, v0
	v_mov_b32_e32 v2, v37
	v_cmp_gt_i64_e32 vcc, 0, v[2:3]
	v_not_b32_e32 v2, v3
	v_ashrrev_i32_e32 v2, 31, v2
	;; [unrolled: 9-line block ×5, first 2 shown]
	v_xor_b32_e32 v3, vcc_hi, v2
	v_and_b32_e32 v3, v1, v3
	v_lshlrev_b32_e32 v1, 24, v0
	v_mov_b32_e32 v0, v37
	v_xor_b32_e32 v2, vcc_lo, v2
	v_cmp_gt_i64_e32 vcc, 0, v[0:1]
	v_not_b32_e32 v0, v1
	v_ashrrev_i32_e32 v0, 31, v0
	v_and_b32_e32 v2, v36, v2
	v_xor_b32_e32 v1, vcc_hi, v0
	v_xor_b32_e32 v0, vcc_lo, v0
	v_and_b32_e32 v0, v2, v0
	v_and_b32_e32 v1, v3, v1
	v_mbcnt_lo_u32_b32 v2, v0, 0
	v_mbcnt_hi_u32_b32 v103, v1, v2
	v_cmp_eq_u32_e32 vcc, 0, v103
	v_cmp_ne_u64_e64 s[34:35], 0, v[0:1]
	s_and_b64 s[42:43], s[34:35], vcc
	; wave barrier
	s_and_saveexec_b64 s[34:35], s[42:43]
	s_cbranch_execz .LBB53_28
; %bb.27:                               ;   in Loop: Header=BB53_6 Depth=2
	v_bcnt_u32_b32 v0, v0, 0
	v_bcnt_u32_b32 v0, v1, v0
	s_waitcnt lgkmcnt(0)
	v_add_u32_e32 v0, v101, v0
	ds_write_b32 v102, v0
.LBB53_28:                              ;   in Loop: Header=BB53_6 Depth=2
	s_or_b64 exec, exec, s[34:35]
	v_lshrrev_b64 v[0:1], s40, v[48:49]
	v_lshlrev_b32_e32 v1, 2, v0
	v_and_b32_e32 v36, 1, v0
	v_and_b32_e32 v1, 0x3fc, v1
	v_lshl_add_u64 v[2:3], v[36:37], 0, -1
	v_cmp_ne_u32_e32 vcc, 0, v36
	v_add_lshl_u32 v1, v1, v74, 2
	s_nop 0
	v_xor_b32_e32 v2, vcc_lo, v2
	; wave barrier
	v_add_u32_e32 v105, 16, v1
	ds_read_b32 v104, v1 offset:16
	v_xor_b32_e32 v1, vcc_hi, v3
	v_and_b32_e32 v36, exec_lo, v2
	v_lshlrev_b32_e32 v3, 30, v0
	v_mov_b32_e32 v2, v37
	v_cmp_gt_i64_e32 vcc, 0, v[2:3]
	v_not_b32_e32 v2, v3
	v_ashrrev_i32_e32 v2, 31, v2
	v_and_b32_e32 v1, exec_hi, v1
	v_xor_b32_e32 v3, vcc_hi, v2
	v_xor_b32_e32 v2, vcc_lo, v2
	v_and_b32_e32 v1, v1, v3
	v_and_b32_e32 v36, v36, v2
	v_lshlrev_b32_e32 v3, 29, v0
	v_mov_b32_e32 v2, v37
	v_cmp_gt_i64_e32 vcc, 0, v[2:3]
	v_not_b32_e32 v2, v3
	v_ashrrev_i32_e32 v2, 31, v2
	v_xor_b32_e32 v3, vcc_hi, v2
	v_xor_b32_e32 v2, vcc_lo, v2
	v_and_b32_e32 v1, v1, v3
	v_and_b32_e32 v36, v36, v2
	v_lshlrev_b32_e32 v3, 28, v0
	v_mov_b32_e32 v2, v37
	v_cmp_gt_i64_e32 vcc, 0, v[2:3]
	v_not_b32_e32 v2, v3
	v_ashrrev_i32_e32 v2, 31, v2
	;; [unrolled: 9-line block ×5, first 2 shown]
	v_xor_b32_e32 v3, vcc_hi, v2
	v_and_b32_e32 v3, v1, v3
	v_lshlrev_b32_e32 v1, 24, v0
	v_mov_b32_e32 v0, v37
	v_xor_b32_e32 v2, vcc_lo, v2
	v_cmp_gt_i64_e32 vcc, 0, v[0:1]
	v_not_b32_e32 v0, v1
	v_ashrrev_i32_e32 v0, 31, v0
	v_and_b32_e32 v2, v36, v2
	v_xor_b32_e32 v1, vcc_hi, v0
	v_xor_b32_e32 v0, vcc_lo, v0
	v_and_b32_e32 v0, v2, v0
	v_and_b32_e32 v1, v3, v1
	v_mbcnt_lo_u32_b32 v2, v0, 0
	v_mbcnt_hi_u32_b32 v106, v1, v2
	v_cmp_eq_u32_e32 vcc, 0, v106
	v_cmp_ne_u64_e64 s[34:35], 0, v[0:1]
	s_and_b64 s[42:43], s[34:35], vcc
	; wave barrier
	s_and_saveexec_b64 s[34:35], s[42:43]
	s_cbranch_execz .LBB53_30
; %bb.29:                               ;   in Loop: Header=BB53_6 Depth=2
	v_bcnt_u32_b32 v0, v0, 0
	v_bcnt_u32_b32 v0, v1, v0
	s_waitcnt lgkmcnt(0)
	v_add_u32_e32 v0, v104, v0
	ds_write_b32 v105, v0
.LBB53_30:                              ;   in Loop: Header=BB53_6 Depth=2
	s_or_b64 exec, exec, s[34:35]
	v_lshrrev_b64 v[0:1], s40, v[46:47]
	v_lshlrev_b32_e32 v1, 2, v0
	v_and_b32_e32 v36, 1, v0
	v_and_b32_e32 v1, 0x3fc, v1
	v_lshl_add_u64 v[2:3], v[36:37], 0, -1
	v_cmp_ne_u32_e32 vcc, 0, v36
	v_add_lshl_u32 v1, v1, v74, 2
	s_nop 0
	v_xor_b32_e32 v2, vcc_lo, v2
	; wave barrier
	v_add_u32_e32 v108, 16, v1
	ds_read_b32 v107, v1 offset:16
	v_xor_b32_e32 v1, vcc_hi, v3
	v_and_b32_e32 v36, exec_lo, v2
	v_lshlrev_b32_e32 v3, 30, v0
	v_mov_b32_e32 v2, v37
	v_cmp_gt_i64_e32 vcc, 0, v[2:3]
	v_not_b32_e32 v2, v3
	v_ashrrev_i32_e32 v2, 31, v2
	v_and_b32_e32 v1, exec_hi, v1
	v_xor_b32_e32 v3, vcc_hi, v2
	v_xor_b32_e32 v2, vcc_lo, v2
	v_and_b32_e32 v1, v1, v3
	v_and_b32_e32 v36, v36, v2
	v_lshlrev_b32_e32 v3, 29, v0
	v_mov_b32_e32 v2, v37
	v_cmp_gt_i64_e32 vcc, 0, v[2:3]
	v_not_b32_e32 v2, v3
	v_ashrrev_i32_e32 v2, 31, v2
	v_xor_b32_e32 v3, vcc_hi, v2
	v_xor_b32_e32 v2, vcc_lo, v2
	v_and_b32_e32 v1, v1, v3
	v_and_b32_e32 v36, v36, v2
	v_lshlrev_b32_e32 v3, 28, v0
	v_mov_b32_e32 v2, v37
	v_cmp_gt_i64_e32 vcc, 0, v[2:3]
	v_not_b32_e32 v2, v3
	v_ashrrev_i32_e32 v2, 31, v2
	;; [unrolled: 9-line block ×5, first 2 shown]
	v_xor_b32_e32 v3, vcc_hi, v2
	v_and_b32_e32 v3, v1, v3
	v_lshlrev_b32_e32 v1, 24, v0
	v_mov_b32_e32 v0, v37
	v_xor_b32_e32 v2, vcc_lo, v2
	v_cmp_gt_i64_e32 vcc, 0, v[0:1]
	v_not_b32_e32 v0, v1
	v_ashrrev_i32_e32 v0, 31, v0
	v_and_b32_e32 v2, v36, v2
	v_xor_b32_e32 v1, vcc_hi, v0
	v_xor_b32_e32 v0, vcc_lo, v0
	v_and_b32_e32 v0, v2, v0
	v_and_b32_e32 v1, v3, v1
	v_mbcnt_lo_u32_b32 v2, v0, 0
	v_mbcnt_hi_u32_b32 v109, v1, v2
	v_cmp_eq_u32_e32 vcc, 0, v109
	v_cmp_ne_u64_e64 s[34:35], 0, v[0:1]
	s_and_b64 s[42:43], s[34:35], vcc
	; wave barrier
	s_and_saveexec_b64 s[34:35], s[42:43]
	s_cbranch_execz .LBB53_32
; %bb.31:                               ;   in Loop: Header=BB53_6 Depth=2
	v_bcnt_u32_b32 v0, v0, 0
	v_bcnt_u32_b32 v0, v1, v0
	s_waitcnt lgkmcnt(0)
	v_add_u32_e32 v0, v107, v0
	ds_write_b32 v108, v0
.LBB53_32:                              ;   in Loop: Header=BB53_6 Depth=2
	s_or_b64 exec, exec, s[34:35]
	v_lshrrev_b64 v[0:1], s40, v[44:45]
	v_lshlrev_b32_e32 v1, 2, v0
	v_and_b32_e32 v36, 1, v0
	v_and_b32_e32 v1, 0x3fc, v1
	v_lshl_add_u64 v[2:3], v[36:37], 0, -1
	v_cmp_ne_u32_e32 vcc, 0, v36
	v_add_lshl_u32 v1, v1, v74, 2
	s_nop 0
	v_xor_b32_e32 v2, vcc_lo, v2
	; wave barrier
	v_add_u32_e32 v111, 16, v1
	ds_read_b32 v110, v1 offset:16
	v_xor_b32_e32 v1, vcc_hi, v3
	v_and_b32_e32 v36, exec_lo, v2
	v_lshlrev_b32_e32 v3, 30, v0
	v_mov_b32_e32 v2, v37
	v_cmp_gt_i64_e32 vcc, 0, v[2:3]
	v_not_b32_e32 v2, v3
	v_ashrrev_i32_e32 v2, 31, v2
	v_and_b32_e32 v1, exec_hi, v1
	v_xor_b32_e32 v3, vcc_hi, v2
	v_xor_b32_e32 v2, vcc_lo, v2
	v_and_b32_e32 v1, v1, v3
	v_and_b32_e32 v36, v36, v2
	v_lshlrev_b32_e32 v3, 29, v0
	v_mov_b32_e32 v2, v37
	v_cmp_gt_i64_e32 vcc, 0, v[2:3]
	v_not_b32_e32 v2, v3
	v_ashrrev_i32_e32 v2, 31, v2
	v_xor_b32_e32 v3, vcc_hi, v2
	v_xor_b32_e32 v2, vcc_lo, v2
	v_and_b32_e32 v1, v1, v3
	v_and_b32_e32 v36, v36, v2
	v_lshlrev_b32_e32 v3, 28, v0
	v_mov_b32_e32 v2, v37
	v_cmp_gt_i64_e32 vcc, 0, v[2:3]
	v_not_b32_e32 v2, v3
	v_ashrrev_i32_e32 v2, 31, v2
	;; [unrolled: 9-line block ×5, first 2 shown]
	v_xor_b32_e32 v3, vcc_hi, v2
	v_and_b32_e32 v3, v1, v3
	v_lshlrev_b32_e32 v1, 24, v0
	v_mov_b32_e32 v0, v37
	v_xor_b32_e32 v2, vcc_lo, v2
	v_cmp_gt_i64_e32 vcc, 0, v[0:1]
	v_not_b32_e32 v0, v1
	v_ashrrev_i32_e32 v0, 31, v0
	v_and_b32_e32 v2, v36, v2
	v_xor_b32_e32 v1, vcc_hi, v0
	v_xor_b32_e32 v0, vcc_lo, v0
	v_and_b32_e32 v0, v2, v0
	v_and_b32_e32 v1, v3, v1
	v_mbcnt_lo_u32_b32 v2, v0, 0
	v_mbcnt_hi_u32_b32 v112, v1, v2
	v_cmp_eq_u32_e32 vcc, 0, v112
	v_cmp_ne_u64_e64 s[34:35], 0, v[0:1]
	s_and_b64 s[42:43], s[34:35], vcc
	; wave barrier
	s_and_saveexec_b64 s[34:35], s[42:43]
	s_cbranch_execz .LBB53_34
; %bb.33:                               ;   in Loop: Header=BB53_6 Depth=2
	v_bcnt_u32_b32 v0, v0, 0
	v_bcnt_u32_b32 v0, v1, v0
	s_waitcnt lgkmcnt(0)
	v_add_u32_e32 v0, v110, v0
	ds_write_b32 v111, v0
.LBB53_34:                              ;   in Loop: Header=BB53_6 Depth=2
	s_or_b64 exec, exec, s[34:35]
	v_lshrrev_b64 v[0:1], s40, v[42:43]
	v_lshlrev_b32_e32 v1, 2, v0
	v_and_b32_e32 v36, 1, v0
	v_and_b32_e32 v1, 0x3fc, v1
	v_lshl_add_u64 v[2:3], v[36:37], 0, -1
	v_cmp_ne_u32_e32 vcc, 0, v36
	v_add_lshl_u32 v1, v1, v74, 2
	s_nop 0
	v_xor_b32_e32 v2, vcc_lo, v2
	; wave barrier
	v_add_u32_e32 v114, 16, v1
	ds_read_b32 v113, v1 offset:16
	v_xor_b32_e32 v1, vcc_hi, v3
	v_and_b32_e32 v36, exec_lo, v2
	v_lshlrev_b32_e32 v3, 30, v0
	v_mov_b32_e32 v2, v37
	v_cmp_gt_i64_e32 vcc, 0, v[2:3]
	v_not_b32_e32 v2, v3
	v_ashrrev_i32_e32 v2, 31, v2
	v_and_b32_e32 v1, exec_hi, v1
	v_xor_b32_e32 v3, vcc_hi, v2
	v_xor_b32_e32 v2, vcc_lo, v2
	v_and_b32_e32 v1, v1, v3
	v_and_b32_e32 v36, v36, v2
	v_lshlrev_b32_e32 v3, 29, v0
	v_mov_b32_e32 v2, v37
	v_cmp_gt_i64_e32 vcc, 0, v[2:3]
	v_not_b32_e32 v2, v3
	v_ashrrev_i32_e32 v2, 31, v2
	v_xor_b32_e32 v3, vcc_hi, v2
	v_xor_b32_e32 v2, vcc_lo, v2
	v_and_b32_e32 v1, v1, v3
	v_and_b32_e32 v36, v36, v2
	v_lshlrev_b32_e32 v3, 28, v0
	v_mov_b32_e32 v2, v37
	v_cmp_gt_i64_e32 vcc, 0, v[2:3]
	v_not_b32_e32 v2, v3
	v_ashrrev_i32_e32 v2, 31, v2
	v_xor_b32_e32 v3, vcc_hi, v2
	v_xor_b32_e32 v2, vcc_lo, v2
	v_and_b32_e32 v1, v1, v3
	v_and_b32_e32 v36, v36, v2
	v_lshlrev_b32_e32 v3, 27, v0
	v_mov_b32_e32 v2, v37
	v_cmp_gt_i64_e32 vcc, 0, v[2:3]
	v_not_b32_e32 v2, v3
	v_ashrrev_i32_e32 v2, 31, v2
	v_xor_b32_e32 v3, vcc_hi, v2
	v_xor_b32_e32 v2, vcc_lo, v2
	v_and_b32_e32 v1, v1, v3
	v_and_b32_e32 v36, v36, v2
	v_lshlrev_b32_e32 v3, 26, v0
	v_mov_b32_e32 v2, v37
	v_cmp_gt_i64_e32 vcc, 0, v[2:3]
	v_not_b32_e32 v2, v3
	v_ashrrev_i32_e32 v2, 31, v2
	v_xor_b32_e32 v3, vcc_hi, v2
	v_xor_b32_e32 v2, vcc_lo, v2
	v_and_b32_e32 v1, v1, v3
	v_and_b32_e32 v36, v36, v2
	v_lshlrev_b32_e32 v3, 25, v0
	v_mov_b32_e32 v2, v37
	v_cmp_gt_i64_e32 vcc, 0, v[2:3]
	v_not_b32_e32 v2, v3
	v_ashrrev_i32_e32 v2, 31, v2
	v_xor_b32_e32 v3, vcc_hi, v2
	v_and_b32_e32 v3, v1, v3
	v_lshlrev_b32_e32 v1, 24, v0
	v_mov_b32_e32 v0, v37
	v_xor_b32_e32 v2, vcc_lo, v2
	v_cmp_gt_i64_e32 vcc, 0, v[0:1]
	v_not_b32_e32 v0, v1
	v_ashrrev_i32_e32 v0, 31, v0
	v_and_b32_e32 v2, v36, v2
	v_xor_b32_e32 v1, vcc_hi, v0
	v_xor_b32_e32 v0, vcc_lo, v0
	v_and_b32_e32 v0, v2, v0
	v_and_b32_e32 v1, v3, v1
	v_mbcnt_lo_u32_b32 v2, v0, 0
	v_mbcnt_hi_u32_b32 v115, v1, v2
	v_cmp_eq_u32_e32 vcc, 0, v115
	v_cmp_ne_u64_e64 s[34:35], 0, v[0:1]
	s_and_b64 s[42:43], s[34:35], vcc
	; wave barrier
	s_and_saveexec_b64 s[34:35], s[42:43]
	s_cbranch_execz .LBB53_36
; %bb.35:                               ;   in Loop: Header=BB53_6 Depth=2
	v_bcnt_u32_b32 v0, v0, 0
	v_bcnt_u32_b32 v0, v1, v0
	s_waitcnt lgkmcnt(0)
	v_add_u32_e32 v0, v113, v0
	ds_write_b32 v114, v0
.LBB53_36:                              ;   in Loop: Header=BB53_6 Depth=2
	s_or_b64 exec, exec, s[34:35]
	v_lshrrev_b64 v[0:1], s40, v[32:33]
	v_lshlrev_b32_e32 v1, 2, v0
	v_and_b32_e32 v36, 1, v0
	v_and_b32_e32 v1, 0x3fc, v1
	v_lshl_add_u64 v[2:3], v[36:37], 0, -1
	v_cmp_ne_u32_e32 vcc, 0, v36
	v_add_lshl_u32 v1, v1, v74, 2
	s_nop 0
	v_xor_b32_e32 v2, vcc_lo, v2
	; wave barrier
	v_add_u32_e32 v117, 16, v1
	ds_read_b32 v116, v1 offset:16
	v_xor_b32_e32 v1, vcc_hi, v3
	v_and_b32_e32 v36, exec_lo, v2
	v_lshlrev_b32_e32 v3, 30, v0
	v_mov_b32_e32 v2, v37
	v_cmp_gt_i64_e32 vcc, 0, v[2:3]
	v_not_b32_e32 v2, v3
	v_ashrrev_i32_e32 v2, 31, v2
	v_and_b32_e32 v1, exec_hi, v1
	v_xor_b32_e32 v3, vcc_hi, v2
	v_xor_b32_e32 v2, vcc_lo, v2
	v_and_b32_e32 v1, v1, v3
	v_and_b32_e32 v36, v36, v2
	v_lshlrev_b32_e32 v3, 29, v0
	v_mov_b32_e32 v2, v37
	v_cmp_gt_i64_e32 vcc, 0, v[2:3]
	v_not_b32_e32 v2, v3
	v_ashrrev_i32_e32 v2, 31, v2
	v_xor_b32_e32 v3, vcc_hi, v2
	v_xor_b32_e32 v2, vcc_lo, v2
	v_and_b32_e32 v1, v1, v3
	v_and_b32_e32 v36, v36, v2
	v_lshlrev_b32_e32 v3, 28, v0
	v_mov_b32_e32 v2, v37
	v_cmp_gt_i64_e32 vcc, 0, v[2:3]
	v_not_b32_e32 v2, v3
	v_ashrrev_i32_e32 v2, 31, v2
	;; [unrolled: 9-line block ×5, first 2 shown]
	v_xor_b32_e32 v3, vcc_hi, v2
	v_and_b32_e32 v3, v1, v3
	v_lshlrev_b32_e32 v1, 24, v0
	v_mov_b32_e32 v0, v37
	v_xor_b32_e32 v2, vcc_lo, v2
	v_cmp_gt_i64_e32 vcc, 0, v[0:1]
	v_not_b32_e32 v0, v1
	v_ashrrev_i32_e32 v0, 31, v0
	v_and_b32_e32 v2, v36, v2
	v_xor_b32_e32 v1, vcc_hi, v0
	v_xor_b32_e32 v0, vcc_lo, v0
	v_and_b32_e32 v0, v2, v0
	v_and_b32_e32 v1, v3, v1
	v_mbcnt_lo_u32_b32 v2, v0, 0
	v_mbcnt_hi_u32_b32 v125, v1, v2
	v_cmp_eq_u32_e32 vcc, 0, v125
	v_cmp_ne_u64_e64 s[34:35], 0, v[0:1]
	s_and_b64 s[42:43], s[34:35], vcc
	; wave barrier
	s_and_saveexec_b64 s[34:35], s[42:43]
	s_cbranch_execz .LBB53_38
; %bb.37:                               ;   in Loop: Header=BB53_6 Depth=2
	v_bcnt_u32_b32 v0, v0, 0
	v_bcnt_u32_b32 v0, v1, v0
	s_waitcnt lgkmcnt(0)
	v_add_u32_e32 v0, v116, v0
	ds_write_b32 v117, v0
.LBB53_38:                              ;   in Loop: Header=BB53_6 Depth=2
	s_or_b64 exec, exec, s[34:35]
	; wave barrier
	s_waitcnt lgkmcnt(0)
	s_barrier
	ds_read2_b64 v[0:3], v35 offset0:2 offset1:3
	s_waitcnt lgkmcnt(0)
	v_add_u32_e32 v36, v1, v0
	v_add3_u32 v3, v36, v2, v3
	s_nop 1
	v_mov_b32_dpp v36, v3 row_shr:1 row_mask:0xf bank_mask:0xf
	v_cndmask_b32_e64 v36, v36, 0, s[30:31]
	v_add_u32_e32 v3, v36, v3
	s_nop 1
	v_mov_b32_dpp v36, v3 row_shr:2 row_mask:0xf bank_mask:0xf
	v_cndmask_b32_e64 v36, 0, v36, s[4:5]
	v_add_u32_e32 v3, v3, v36
	s_nop 1
	v_mov_b32_dpp v36, v3 row_shr:4 row_mask:0xf bank_mask:0xf
	v_cndmask_b32_e64 v36, 0, v36, s[6:7]
	v_add_u32_e32 v3, v3, v36
	s_nop 1
	v_mov_b32_dpp v36, v3 row_shr:8 row_mask:0xf bank_mask:0xf
	v_cndmask_b32_e64 v36, 0, v36, s[8:9]
	v_add_u32_e32 v3, v3, v36
	s_nop 1
	v_mov_b32_dpp v36, v3 row_bcast:15 row_mask:0xf bank_mask:0xf
	v_cndmask_b32_e64 v36, v36, 0, s[10:11]
	v_add_u32_e32 v3, v3, v36
	s_nop 1
	v_mov_b32_dpp v36, v3 row_bcast:31 row_mask:0xf bank_mask:0xf
	v_cndmask_b32_e64 v36, 0, v36, s[12:13]
	v_add_u32_e32 v3, v3, v36
	s_and_saveexec_b64 s[34:35], s[14:15]
	s_cbranch_execz .LBB53_40
; %bb.39:                               ;   in Loop: Header=BB53_6 Depth=2
	ds_write_b32 v76, v3
.LBB53_40:                              ;   in Loop: Header=BB53_6 Depth=2
	s_or_b64 exec, exec, s[34:35]
	s_waitcnt lgkmcnt(0)
	s_barrier
	s_and_saveexec_b64 s[34:35], s[16:17]
	s_cbranch_execz .LBB53_42
; %bb.41:                               ;   in Loop: Header=BB53_6 Depth=2
	ds_read_b32 v36, v77
	s_waitcnt lgkmcnt(0)
	s_nop 0
	v_mov_b32_dpp v118, v36 row_shr:1 row_mask:0xf bank_mask:0xf
	v_cndmask_b32_e64 v118, v118, 0, s[26:27]
	v_add_u32_e32 v36, v118, v36
	s_nop 1
	v_mov_b32_dpp v118, v36 row_shr:2 row_mask:0xf bank_mask:0xf
	v_cndmask_b32_e64 v118, 0, v118, s[28:29]
	v_add_u32_e32 v36, v36, v118
	ds_write_b32 v77, v36
.LBB53_42:                              ;   in Loop: Header=BB53_6 Depth=2
	s_or_b64 exec, exec, s[34:35]
	v_mov_b32_e32 v36, 0
	s_waitcnt lgkmcnt(0)
	s_barrier
	s_and_saveexec_b64 s[34:35], s[18:19]
	s_cbranch_execz .LBB53_44
; %bb.43:                               ;   in Loop: Header=BB53_6 Depth=2
	ds_read_b32 v36, v78
.LBB53_44:                              ;   in Loop: Header=BB53_6 Depth=2
	s_or_b64 exec, exec, s[34:35]
	s_waitcnt lgkmcnt(0)
	v_add_u32_e32 v3, v36, v3
	ds_bpermute_b32 v3, v75, v3
	s_cmp_gt_u32 s40, 55
	s_waitcnt lgkmcnt(0)
	v_cndmask_b32_e64 v3, v3, v36, s[20:21]
	v_cndmask_b32_e64 v118, v3, 0, s[22:23]
	v_add_u32_e32 v119, v118, v0
	v_add_u32_e32 v0, v119, v1
	;; [unrolled: 1-line block ×3, first 2 shown]
	ds_write2_b64 v35, v[118:119], v[0:1] offset0:2 offset1:3
	s_waitcnt lgkmcnt(0)
	s_barrier
	ds_read_b32 v0, v4
	ds_read_b32 v1, v7
	;; [unrolled: 1-line block ×8, first 2 shown]
	s_waitcnt lgkmcnt(7)
	v_add_u32_e32 v124, v0, v5
	s_waitcnt lgkmcnt(6)
	v_add3_u32 v123, v8, v6, v1
	s_waitcnt lgkmcnt(5)
	v_add3_u32 v122, v11, v9, v2
	;; [unrolled: 2-line block ×5, first 2 shown]
	ds_read_b32 v0, v28
	ds_read_b32 v1, v31
	;; [unrolled: 1-line block ×8, first 2 shown]
	s_waitcnt lgkmcnt(9)
	v_add3_u32 v118, v23, v21, v10
	s_waitcnt lgkmcnt(8)
	v_add3_u32 v36, v26, v24, v13
	s_waitcnt lgkmcnt(7)
	v_add3_u32 v111, v29, v27, v0
	s_waitcnt lgkmcnt(6)
	v_add3_u32 v108, v100, v30, v1
	s_waitcnt lgkmcnt(5)
	v_add3_u32 v105, v103, v101, v2
	s_waitcnt lgkmcnt(4)
	v_add3_u32 v104, v106, v104, v3
	s_waitcnt lgkmcnt(3)
	v_add3_u32 v103, v109, v107, v4
	s_waitcnt lgkmcnt(2)
	v_add3_u32 v101, v112, v110, v5
	s_waitcnt lgkmcnt(1)
	v_add3_u32 v100, v115, v113, v6
	s_waitcnt lgkmcnt(0)
	v_add3_u32 v102, v125, v116, v7
	s_cbranch_scc0 .LBB53_5
; %bb.45:                               ;   in Loop: Header=BB53_2 Depth=1
                                        ; implicit-def: $vgpr0_vgpr1
                                        ; implicit-def: $vgpr4_vgpr5
                                        ; implicit-def: $vgpr8_vgpr9
                                        ; implicit-def: $vgpr12_vgpr13
                                        ; implicit-def: $vgpr16_vgpr17
                                        ; implicit-def: $vgpr20_vgpr21
                                        ; implicit-def: $vgpr24_vgpr25
                                        ; implicit-def: $vgpr28_vgpr29
                                        ; implicit-def: $sgpr40_sgpr41
.LBB53_46:                              ;   in Loop: Header=BB53_2 Depth=1
	v_lshlrev_b32_e32 v0, 3, v124
	s_barrier
	ds_write_b64 v0, v[70:71]
	v_lshlrev_b32_e32 v0, 3, v123
	ds_write_b64 v0, v[68:69]
	v_lshlrev_b32_e32 v0, 3, v122
	;; [unrolled: 2-line block ×15, first 2 shown]
	ds_write_b64 v0, v[32:33]
	s_waitcnt lgkmcnt(0)
	s_barrier
	ds_read2_b64 v[26:29], v79 offset1:1
	ds_read2_b64 v[18:21], v79 offset0:2 offset1:3
	ds_read2_b64 v[10:13], v79 offset0:4 offset1:5
	;; [unrolled: 1-line block ×7, first 2 shown]
	s_waitcnt lgkmcnt(0)
	s_barrier
	s_and_saveexec_b64 s[34:35], s[0:1]
	s_cbranch_execz .LBB53_48
; %bb.47:                               ;   in Loop: Header=BB53_2 Depth=1
	ds_write2st64_b32 v99, v98, v98 offset0:16 offset1:20
.LBB53_48:                              ;   in Loop: Header=BB53_2 Depth=1
	s_or_b64 exec, exec, s[34:35]
	v_cmp_ne_u32_e32 vcc, v6, v8
	v_lshlrev_b32_e32 v1, 2, v6
	s_waitcnt lgkmcnt(0)
	s_barrier
	ds_write_b64 v96, v[8:9]
	s_and_saveexec_b64 s[34:35], vcc
	s_cbranch_execz .LBB53_50
; %bb.49:                               ;   in Loop: Header=BB53_2 Depth=1
	v_lshlrev_b32_e32 v0, 2, v8
	ds_write_b32 v0, v95 offset:4096
	ds_write_b32 v1, v95 offset:5120
.LBB53_50:                              ;   in Loop: Header=BB53_2 Depth=1
	s_or_b64 exec, exec, s[34:35]
	v_cmp_ne_u32_e32 vcc, v6, v16
	v_lshlrev_b32_e32 v36, 2, v16
	v_mov_b32_e32 v0, v6
	s_and_saveexec_b64 s[34:35], vcc
	s_cbranch_execz .LBB53_52
; %bb.51:                               ;   in Loop: Header=BB53_2 Depth=1
	v_mov_b32_e32 v0, v16
	ds_write_b32 v1, v94 offset:4096
	ds_write_b32 v36, v94 offset:5120
.LBB53_52:                              ;   in Loop: Header=BB53_2 Depth=1
	s_or_b64 exec, exec, s[34:35]
	v_cmp_ne_u32_e32 vcc, v0, v14
	v_lshlrev_b32_e32 v1, 2, v14
	s_and_saveexec_b64 s[34:35], vcc
	s_cbranch_execz .LBB53_54
; %bb.53:                               ;   in Loop: Header=BB53_2 Depth=1
	v_mov_b32_e32 v0, v14
	ds_write_b32 v36, v93 offset:4096
	ds_write_b32 v1, v93 offset:5120
.LBB53_54:                              ;   in Loop: Header=BB53_2 Depth=1
	s_or_b64 exec, exec, s[34:35]
	v_cmp_ne_u32_e32 vcc, v0, v24
	v_lshlrev_b32_e32 v36, 2, v24
	;; [unrolled: 10-line block ×13, first 2 shown]
	s_and_saveexec_b64 s[34:35], vcc
	s_cbranch_execz .LBB53_78
; %bb.77:                               ;   in Loop: Header=BB53_2 Depth=1
	ds_write_b32 v36, v80 offset:4096
	ds_write_b32 v0, v80 offset:5120
.LBB53_78:                              ;   in Loop: Header=BB53_2 Depth=1
	s_or_b64 exec, exec, s[34:35]
	s_waitcnt lgkmcnt(0)
	s_barrier
	s_and_saveexec_b64 s[34:35], s[24:25]
	s_cbranch_execz .LBB53_81
; %bb.79:                               ;   in Loop: Header=BB53_2 Depth=1
	ds_read_b32 v1, v97
	s_waitcnt lgkmcnt(0)
	v_cmp_ne_u32_e32 vcc, v1, v26
	s_and_b64 exec, exec, vcc
	s_cbranch_execz .LBB53_81
; %bb.80:                               ;   in Loop: Header=BB53_2 Depth=1
	ds_write_b32 v0, v35 offset:4096
	ds_read_b32 v1, v97
	s_waitcnt lgkmcnt(0)
	v_lshlrev_b32_e32 v1, 2, v1
	ds_write_b32 v1, v35 offset:5120
.LBB53_81:                              ;   in Loop: Header=BB53_2 Depth=1
	s_or_b64 exec, exec, s[34:35]
	s_waitcnt lgkmcnt(0)
	s_barrier
	s_and_saveexec_b64 s[34:35], s[22:23]
	s_cbranch_execz .LBB53_83
; %bb.82:                               ;   in Loop: Header=BB53_2 Depth=1
	ds_write_b32 v0, v37 offset:4096
.LBB53_83:                              ;   in Loop: Header=BB53_2 Depth=1
	s_or_b64 exec, exec, s[34:35]
	s_waitcnt lgkmcnt(0)
	s_barrier
	s_and_saveexec_b64 s[34:35], s[0:1]
	s_cbranch_execz .LBB53_1
; %bb.84:                               ;   in Loop: Header=BB53_2 Depth=1
	ds_read2st64_b32 v[0:1], v99 offset0:16 offset1:20
	ds_read_b64 v[42:43], v82
	s_waitcnt lgkmcnt(1)
	v_sub_u32_e32 v36, v1, v0
	s_waitcnt lgkmcnt(0)
	v_lshl_add_u64 v[0:1], v[42:43], 0, v[36:37]
	ds_write_b64 v82, v[0:1]
	s_branch .LBB53_1
.LBB53_85:
	s_and_saveexec_b64 s[4:5], s[0:1]
	s_cbranch_execz .LBB53_87
; %bb.86:
	ds_read_b64 v[2:3], v82
	v_mov_b32_e32 v0, s38
	v_mov_b32_e32 v1, s39
	v_lshl_or_b32 v4, s2, 8, v34
	v_mov_b32_e32 v5, 0
	v_lshl_add_u64 v[0:1], v[4:5], 3, v[0:1]
	s_waitcnt lgkmcnt(0)
	global_store_dwordx2 v[0:1], v[2:3], off
.LBB53_87:
	s_endpgm
	.section	.rodata,"a",@progbits
	.p2align	6, 0x0
	.amdhsa_kernel _Z6kernelI9histogramILN6hipcub23BlockHistogramAlgorithmE1EEyLj256ELj16ELj256ELj100EEvPKT0_PS4_
		.amdhsa_group_segment_fixed_size 34816
		.amdhsa_private_segment_fixed_size 0
		.amdhsa_kernarg_size 272
		.amdhsa_user_sgpr_count 2
		.amdhsa_user_sgpr_dispatch_ptr 0
		.amdhsa_user_sgpr_queue_ptr 0
		.amdhsa_user_sgpr_kernarg_segment_ptr 1
		.amdhsa_user_sgpr_dispatch_id 0
		.amdhsa_user_sgpr_kernarg_preload_length 0
		.amdhsa_user_sgpr_kernarg_preload_offset 0
		.amdhsa_user_sgpr_private_segment_size 0
		.amdhsa_uses_dynamic_stack 0
		.amdhsa_enable_private_segment 0
		.amdhsa_system_sgpr_workgroup_id_x 1
		.amdhsa_system_sgpr_workgroup_id_y 0
		.amdhsa_system_sgpr_workgroup_id_z 0
		.amdhsa_system_sgpr_workgroup_info 0
		.amdhsa_system_vgpr_workitem_id 2
		.amdhsa_next_free_vgpr 126
		.amdhsa_next_free_sgpr 44
		.amdhsa_accum_offset 128
		.amdhsa_reserve_vcc 1
		.amdhsa_float_round_mode_32 0
		.amdhsa_float_round_mode_16_64 0
		.amdhsa_float_denorm_mode_32 3
		.amdhsa_float_denorm_mode_16_64 3
		.amdhsa_dx10_clamp 1
		.amdhsa_ieee_mode 1
		.amdhsa_fp16_overflow 0
		.amdhsa_tg_split 0
		.amdhsa_exception_fp_ieee_invalid_op 0
		.amdhsa_exception_fp_denorm_src 0
		.amdhsa_exception_fp_ieee_div_zero 0
		.amdhsa_exception_fp_ieee_overflow 0
		.amdhsa_exception_fp_ieee_underflow 0
		.amdhsa_exception_fp_ieee_inexact 0
		.amdhsa_exception_int_div_zero 0
	.end_amdhsa_kernel
	.section	.text._Z6kernelI9histogramILN6hipcub23BlockHistogramAlgorithmE1EEyLj256ELj16ELj256ELj100EEvPKT0_PS4_,"axG",@progbits,_Z6kernelI9histogramILN6hipcub23BlockHistogramAlgorithmE1EEyLj256ELj16ELj256ELj100EEvPKT0_PS4_,comdat
.Lfunc_end53:
	.size	_Z6kernelI9histogramILN6hipcub23BlockHistogramAlgorithmE1EEyLj256ELj16ELj256ELj100EEvPKT0_PS4_, .Lfunc_end53-_Z6kernelI9histogramILN6hipcub23BlockHistogramAlgorithmE1EEyLj256ELj16ELj256ELj100EEvPKT0_PS4_
                                        ; -- End function
	.section	.AMDGPU.csdata,"",@progbits
; Kernel info:
; codeLenInByte = 9420
; NumSgprs: 50
; NumVgprs: 126
; NumAgprs: 0
; TotalNumVgprs: 126
; ScratchSize: 0
; MemoryBound: 0
; FloatMode: 240
; IeeeMode: 1
; LDSByteSize: 34816 bytes/workgroup (compile time only)
; SGPRBlocks: 6
; VGPRBlocks: 15
; NumSGPRsForWavesPerEU: 50
; NumVGPRsForWavesPerEU: 126
; AccumOffset: 128
; Occupancy: 1
; WaveLimiterHint : 0
; COMPUTE_PGM_RSRC2:SCRATCH_EN: 0
; COMPUTE_PGM_RSRC2:USER_SGPR: 2
; COMPUTE_PGM_RSRC2:TRAP_HANDLER: 0
; COMPUTE_PGM_RSRC2:TGID_X_EN: 1
; COMPUTE_PGM_RSRC2:TGID_Y_EN: 0
; COMPUTE_PGM_RSRC2:TGID_Z_EN: 0
; COMPUTE_PGM_RSRC2:TIDIG_COMP_CNT: 2
; COMPUTE_PGM_RSRC3_GFX90A:ACCUM_OFFSET: 31
; COMPUTE_PGM_RSRC3_GFX90A:TG_SPLIT: 0
	.section	.text._Z6kernelI9histogramILN6hipcub23BlockHistogramAlgorithmE1EEyLj320ELj1ELj320ELj100EEvPKT0_PS4_,"axG",@progbits,_Z6kernelI9histogramILN6hipcub23BlockHistogramAlgorithmE1EEyLj320ELj1ELj320ELj100EEvPKT0_PS4_,comdat
	.protected	_Z6kernelI9histogramILN6hipcub23BlockHistogramAlgorithmE1EEyLj320ELj1ELj320ELj100EEvPKT0_PS4_ ; -- Begin function _Z6kernelI9histogramILN6hipcub23BlockHistogramAlgorithmE1EEyLj320ELj1ELj320ELj100EEvPKT0_PS4_
	.globl	_Z6kernelI9histogramILN6hipcub23BlockHistogramAlgorithmE1EEyLj320ELj1ELj320ELj100EEvPKT0_PS4_
	.p2align	8
	.type	_Z6kernelI9histogramILN6hipcub23BlockHistogramAlgorithmE1EEyLj320ELj1ELj320ELj100EEvPKT0_PS4_,@function
_Z6kernelI9histogramILN6hipcub23BlockHistogramAlgorithmE1EEyLj320ELj1ELj320ELj100EEvPKT0_PS4_: ; @_Z6kernelI9histogramILN6hipcub23BlockHistogramAlgorithmE1EEyLj320ELj1ELj320ELj100EEvPKT0_PS4_
; %bb.0:
	s_load_dwordx4 s[36:39], s[0:1], 0x0
	s_load_dword s3, s[0:1], 0x1c
	s_mulk_i32 s2, 0x140
	v_and_b32_e32 v4, 0x3ff, v0
	v_mov_b32_e32 v1, 0
	s_waitcnt lgkmcnt(0)
	v_mov_b32_e32 v6, s36
	v_mov_b32_e32 v7, s37
	v_add_u32_e32 v2, s2, v4
	v_mov_b32_e32 v3, v1
	v_lshl_add_u64 v[6:7], v[2:3], 3, v[6:7]
	global_load_dwordx2 v[8:9], v[6:7], off
	s_lshr_b32 s2, s3, 16
	v_bfe_u32 v5, v0, 10, 10
	v_bfe_u32 v0, v0, 20, 10
	s_and_b32 s3, s3, 0xffff
	v_mad_u32_u24 v0, v0, s2, v5
	v_mad_u64_u32 v[6:7], s[2:3], v0, s3, v[4:5]
	v_lshrrev_b32_e32 v13, 6, v6
	v_mbcnt_lo_u32_b32 v6, -1, 0
	v_mbcnt_hi_u32_b32 v6, -1, v6
	v_and_b32_e32 v7, 15, v6
	v_cmp_eq_u32_e64 s[2:3], 0, v7
	v_cmp_lt_u32_e64 s[4:5], 1, v7
	v_cmp_lt_u32_e64 s[6:7], 3, v7
	;; [unrolled: 1-line block ×3, first 2 shown]
	v_and_b32_e32 v7, 16, v6
	v_cmp_eq_u32_e64 s[10:11], 0, v7
	v_and_b32_e32 v7, 0x1c0, v4
	v_min_u32_e32 v10, 0x100, v7
	v_or_b32_e32 v10, 63, v10
	v_cmp_eq_u32_e64 s[14:15], v10, v4
	v_add_u32_e32 v10, -1, v6
	v_and_b32_e32 v11, 64, v6
	v_cmp_lt_i32_e32 vcc, v10, v11
	v_lshlrev_b32_e32 v5, 4, v4
	v_lshlrev_b32_e32 v0, 2, v4
	v_cndmask_b32_e32 v10, v10, v6, vcc
	v_lshlrev_b32_e32 v14, 2, v10
	v_lshrrev_b32_e32 v10, 4, v4
	v_mad_i32_i24 v17, v4, -12, v5
	s_movk_i32 s0, 0x140
	v_cmp_lt_u32_e64 s[12:13], 31, v6
	v_cmp_eq_u32_e64 s[20:21], 0, v6
	v_and_b32_e32 v16, 28, v10
	v_and_b32_e32 v10, 7, v6
	v_add_lshl_u32 v19, v6, v7, 3
	v_add_u32_e32 v20, v17, v0
	v_mov_b32_e32 v6, 0x1e00
	v_sub_u32_e32 v0, 0, v0
	v_cmp_gt_u32_e64 s[0:1], s0, v4
	v_add_u32_e32 v12, 20, v5
	s_mov_b32 s33, 0
	v_cmp_gt_u32_e64 s[16:17], 5, v4
	v_cmp_lt_u32_e64 s[18:19], 63, v4
	v_cmp_eq_u32_e64 s[22:23], 0, v4
	v_cmp_ne_u32_e64 s[24:25], 0, v4
	v_cmp_eq_u32_e64 s[26:27], 0, v10
	v_cmp_lt_u32_e64 s[28:29], 1, v10
	v_cmp_lt_u32_e64 s[30:31], 3, v10
	v_add_u32_e32 v18, -4, v16
	v_lshl_add_u32 v15, v4, 3, v6
	v_add_u32_e32 v21, -8, v20
	v_mov_b32_e32 v22, 0x140
	v_add_u32_e32 v23, v20, v0
	s_branch .LBB54_2
.LBB54_1:                               ;   in Loop: Header=BB54_2 Depth=1
	s_or_b64 exec, exec, s[34:35]
	s_add_i32 s33, s33, 1
	s_cmpk_lg_i32 s33, 0x64
	s_cbranch_scc0 .LBB54_25
.LBB54_2:                               ; =>This Loop Header: Depth=1
                                        ;     Child Loop BB54_6 Depth 2
	s_and_saveexec_b64 s[34:35], s[0:1]
	s_cbranch_execz .LBB54_4
; %bb.3:                                ;   in Loop: Header=BB54_2 Depth=1
	v_mov_b32_e32 v0, v1
	ds_write_b64 v15, v[0:1]
.LBB54_4:                               ;   in Loop: Header=BB54_2 Depth=1
	s_or_b64 exec, exec, s[34:35]
	s_mov_b64 s[36:37], 0
	s_waitcnt lgkmcnt(0)
	s_barrier
	s_branch .LBB54_6
.LBB54_5:                               ;   in Loop: Header=BB54_6 Depth=2
	v_lshlrev_b32_e32 v8, 3, v0
	s_barrier
	ds_write_b64 v8, v[6:7]
	s_waitcnt lgkmcnt(0)
	s_barrier
	ds_read_b64 v[8:9], v19
	s_add_u32 s36, s36, 8
	s_addc_u32 s37, s37, 0
	s_waitcnt lgkmcnt(0)
	s_barrier
	s_cbranch_execz .LBB54_16
.LBB54_6:                               ;   Parent Loop BB54_2 Depth=1
                                        ; =>  This Inner Loop Header: Depth=2
	s_waitcnt vmcnt(0)
	v_mov_b64_e32 v[6:7], v[8:9]
	v_lshrrev_b64 v[8:9], s36, v[6:7]
	v_and_b32_e32 v0, 0xff, v8
	v_mad_u32_u24 v0, v0, 5, v13
	v_lshl_add_u32 v24, v0, 2, 20
	v_and_b32_e32 v0, 1, v8
	v_lshl_add_u64 v[10:11], v[0:1], 0, -1
	v_cmp_ne_u32_e32 vcc, 0, v0
	ds_write2_b32 v5, v1, v1 offset0:5 offset1:6
	ds_write2_b32 v12, v1, v1 offset0:2 offset1:3
	v_xor_b32_e32 v0, vcc_hi, v11
	v_xor_b32_e32 v9, vcc_lo, v10
	v_lshlrev_b32_e32 v11, 30, v8
	v_mov_b32_e32 v10, v1
	v_cmp_gt_i64_e32 vcc, 0, v[10:11]
	v_not_b32_e32 v10, v11
	v_ashrrev_i32_e32 v10, 31, v10
	v_and_b32_e32 v0, exec_hi, v0
	v_and_b32_e32 v9, exec_lo, v9
	v_xor_b32_e32 v11, vcc_hi, v10
	v_xor_b32_e32 v10, vcc_lo, v10
	v_and_b32_e32 v0, v0, v11
	v_and_b32_e32 v9, v9, v10
	v_lshlrev_b32_e32 v11, 29, v8
	v_mov_b32_e32 v10, v1
	v_cmp_gt_i64_e32 vcc, 0, v[10:11]
	v_not_b32_e32 v10, v11
	v_ashrrev_i32_e32 v10, 31, v10
	v_xor_b32_e32 v11, vcc_hi, v10
	v_xor_b32_e32 v10, vcc_lo, v10
	v_and_b32_e32 v0, v0, v11
	v_and_b32_e32 v9, v9, v10
	v_lshlrev_b32_e32 v11, 28, v8
	v_mov_b32_e32 v10, v1
	v_cmp_gt_i64_e32 vcc, 0, v[10:11]
	v_not_b32_e32 v10, v11
	v_ashrrev_i32_e32 v10, 31, v10
	;; [unrolled: 9-line block ×5, first 2 shown]
	v_xor_b32_e32 v11, vcc_hi, v10
	v_xor_b32_e32 v10, vcc_lo, v10
	v_and_b32_e32 v10, v9, v10
	v_lshlrev_b32_e32 v9, 24, v8
	v_mov_b32_e32 v8, v1
	v_cmp_gt_i64_e32 vcc, 0, v[8:9]
	v_not_b32_e32 v8, v9
	v_ashrrev_i32_e32 v8, 31, v8
	v_xor_b32_e32 v9, vcc_hi, v8
	v_xor_b32_e32 v8, vcc_lo, v8
	v_and_b32_e32 v0, v0, v11
	v_and_b32_e32 v8, v10, v8
	;; [unrolled: 1-line block ×3, first 2 shown]
	v_mbcnt_lo_u32_b32 v0, v8, 0
	v_mbcnt_hi_u32_b32 v0, v9, v0
	v_cmp_eq_u32_e32 vcc, 0, v0
	v_cmp_ne_u64_e64 s[34:35], 0, v[8:9]
	s_and_b64 s[40:41], s[34:35], vcc
	s_waitcnt lgkmcnt(0)
	s_barrier
	s_waitcnt lgkmcnt(0)
	; wave barrier
	s_and_saveexec_b64 s[34:35], s[40:41]
	s_cbranch_execz .LBB54_8
; %bb.7:                                ;   in Loop: Header=BB54_6 Depth=2
	v_bcnt_u32_b32 v8, v8, 0
	v_bcnt_u32_b32 v8, v9, v8
	ds_write_b32 v24, v8
.LBB54_8:                               ;   in Loop: Header=BB54_6 Depth=2
	s_or_b64 exec, exec, s[34:35]
	; wave barrier
	s_waitcnt lgkmcnt(0)
	s_barrier
	ds_read2_b32 v[10:11], v5 offset0:5 offset1:6
	ds_read2_b32 v[8:9], v12 offset0:2 offset1:3
	s_waitcnt lgkmcnt(1)
	v_add_u32_e32 v25, v11, v10
	s_waitcnt lgkmcnt(0)
	v_add3_u32 v9, v25, v8, v9
	s_nop 1
	v_mov_b32_dpp v25, v9 row_shr:1 row_mask:0xf bank_mask:0xf
	v_cndmask_b32_e64 v25, v25, 0, s[2:3]
	v_add_u32_e32 v9, v25, v9
	s_nop 1
	v_mov_b32_dpp v25, v9 row_shr:2 row_mask:0xf bank_mask:0xf
	v_cndmask_b32_e64 v25, 0, v25, s[4:5]
	v_add_u32_e32 v9, v9, v25
	;; [unrolled: 4-line block ×4, first 2 shown]
	s_nop 1
	v_mov_b32_dpp v25, v9 row_bcast:15 row_mask:0xf bank_mask:0xf
	v_cndmask_b32_e64 v25, v25, 0, s[10:11]
	v_add_u32_e32 v9, v9, v25
	s_nop 1
	v_mov_b32_dpp v25, v9 row_bcast:31 row_mask:0xf bank_mask:0xf
	v_cndmask_b32_e64 v25, 0, v25, s[12:13]
	v_add_u32_e32 v9, v9, v25
	s_and_saveexec_b64 s[34:35], s[14:15]
	s_cbranch_execz .LBB54_10
; %bb.9:                                ;   in Loop: Header=BB54_6 Depth=2
	ds_write_b32 v16, v9
.LBB54_10:                              ;   in Loop: Header=BB54_6 Depth=2
	s_or_b64 exec, exec, s[34:35]
	s_waitcnt lgkmcnt(0)
	s_barrier
	s_and_saveexec_b64 s[34:35], s[16:17]
	s_cbranch_execz .LBB54_12
; %bb.11:                               ;   in Loop: Header=BB54_6 Depth=2
	ds_read_b32 v25, v17
	s_waitcnt lgkmcnt(0)
	s_nop 0
	v_mov_b32_dpp v26, v25 row_shr:1 row_mask:0xf bank_mask:0xf
	v_cndmask_b32_e64 v26, v26, 0, s[26:27]
	v_add_u32_e32 v25, v26, v25
	s_nop 1
	v_mov_b32_dpp v26, v25 row_shr:2 row_mask:0xf bank_mask:0xf
	v_cndmask_b32_e64 v26, 0, v26, s[28:29]
	v_add_u32_e32 v25, v25, v26
	;; [unrolled: 4-line block ×3, first 2 shown]
	ds_write_b32 v17, v25
.LBB54_12:                              ;   in Loop: Header=BB54_6 Depth=2
	s_or_b64 exec, exec, s[34:35]
	v_mov_b32_e32 v25, 0
	s_waitcnt lgkmcnt(0)
	s_barrier
	s_and_saveexec_b64 s[34:35], s[18:19]
	s_cbranch_execz .LBB54_14
; %bb.13:                               ;   in Loop: Header=BB54_6 Depth=2
	ds_read_b32 v25, v18
.LBB54_14:                              ;   in Loop: Header=BB54_6 Depth=2
	s_or_b64 exec, exec, s[34:35]
	s_waitcnt lgkmcnt(0)
	v_add_u32_e32 v9, v25, v9
	ds_bpermute_b32 v9, v14, v9
	s_cmp_gt_u32 s36, 55
	s_waitcnt lgkmcnt(0)
	v_cndmask_b32_e64 v9, v9, v25, s[20:21]
	v_cndmask_b32_e64 v9, v9, 0, s[22:23]
	v_add_u32_e32 v10, v9, v10
	v_add_u32_e32 v11, v10, v11
	;; [unrolled: 1-line block ×3, first 2 shown]
	ds_write2_b32 v5, v9, v10 offset0:5 offset1:6
	ds_write2_b32 v12, v11, v8 offset0:2 offset1:3
	s_waitcnt lgkmcnt(0)
	s_barrier
	ds_read_b32 v8, v24
	s_waitcnt lgkmcnt(0)
	v_add_u32_e32 v0, v8, v0
	s_cbranch_scc0 .LBB54_5
; %bb.15:                               ;   in Loop: Header=BB54_2 Depth=1
                                        ; implicit-def: $vgpr8_vgpr9
                                        ; implicit-def: $sgpr36_sgpr37
.LBB54_16:                              ;   in Loop: Header=BB54_2 Depth=1
	v_lshlrev_b32_e32 v0, 3, v0
	s_barrier
	ds_write_b64 v0, v[6:7]
	s_waitcnt lgkmcnt(0)
	s_barrier
	ds_read_b64 v[8:9], v20
	s_waitcnt lgkmcnt(0)
	s_barrier
	s_and_saveexec_b64 s[34:35], s[0:1]
	s_cbranch_execz .LBB54_18
; %bb.17:                               ;   in Loop: Header=BB54_2 Depth=1
	ds_write2st64_b32 v23, v22, v22 offset0:20 offset1:25
.LBB54_18:                              ;   in Loop: Header=BB54_2 Depth=1
	s_or_b64 exec, exec, s[34:35]
	s_waitcnt lgkmcnt(0)
	s_barrier
	ds_write_b64 v20, v[8:9]
	s_waitcnt lgkmcnt(0)
	s_barrier
	s_and_saveexec_b64 s[34:35], s[24:25]
	s_cbranch_execz .LBB54_21
; %bb.19:                               ;   in Loop: Header=BB54_2 Depth=1
	ds_read_b32 v0, v21
	s_waitcnt lgkmcnt(0)
	v_cmp_ne_u32_e32 vcc, v0, v8
	s_and_b64 exec, exec, vcc
	s_cbranch_execz .LBB54_21
; %bb.20:                               ;   in Loop: Header=BB54_2 Depth=1
	v_lshlrev_b32_e32 v0, 2, v8
	ds_write_b32 v0, v4 offset:5120
	ds_read_b32 v0, v21
	s_waitcnt lgkmcnt(0)
	v_lshlrev_b32_e32 v0, 2, v0
	ds_write_b32 v0, v4 offset:6400
.LBB54_21:                              ;   in Loop: Header=BB54_2 Depth=1
	s_or_b64 exec, exec, s[34:35]
	s_waitcnt lgkmcnt(0)
	s_barrier
	s_and_saveexec_b64 s[34:35], s[22:23]
	s_cbranch_execz .LBB54_23
; %bb.22:                               ;   in Loop: Header=BB54_2 Depth=1
	v_lshlrev_b32_e32 v0, 2, v8
	ds_write_b32 v0, v1 offset:5120
.LBB54_23:                              ;   in Loop: Header=BB54_2 Depth=1
	s_or_b64 exec, exec, s[34:35]
	s_waitcnt lgkmcnt(0)
	s_barrier
	s_and_saveexec_b64 s[34:35], s[0:1]
	s_cbranch_execz .LBB54_1
; %bb.24:                               ;   in Loop: Header=BB54_2 Depth=1
	ds_read2st64_b32 v[6:7], v23 offset0:20 offset1:25
	ds_read_b64 v[10:11], v15
	s_waitcnt lgkmcnt(1)
	v_sub_u32_e32 v0, v7, v6
	s_waitcnt lgkmcnt(0)
	v_lshl_add_u64 v[6:7], v[10:11], 0, v[0:1]
	ds_write_b64 v15, v[6:7]
	s_branch .LBB54_1
.LBB54_25:
	s_and_saveexec_b64 s[2:3], s[0:1]
	s_cbranch_execz .LBB54_27
; %bb.26:
	ds_read_b64 v[0:1], v15
	v_mov_b32_e32 v4, s38
	v_mov_b32_e32 v5, s39
	v_lshl_add_u64 v[2:3], v[2:3], 3, v[4:5]
	s_waitcnt lgkmcnt(0)
	global_store_dwordx2 v[2:3], v[0:1], off
.LBB54_27:
	s_endpgm
	.section	.rodata,"a",@progbits
	.p2align	6, 0x0
	.amdhsa_kernel _Z6kernelI9histogramILN6hipcub23BlockHistogramAlgorithmE1EEyLj320ELj1ELj320ELj100EEvPKT0_PS4_
		.amdhsa_group_segment_fixed_size 10240
		.amdhsa_private_segment_fixed_size 0
		.amdhsa_kernarg_size 272
		.amdhsa_user_sgpr_count 2
		.amdhsa_user_sgpr_dispatch_ptr 0
		.amdhsa_user_sgpr_queue_ptr 0
		.amdhsa_user_sgpr_kernarg_segment_ptr 1
		.amdhsa_user_sgpr_dispatch_id 0
		.amdhsa_user_sgpr_kernarg_preload_length 0
		.amdhsa_user_sgpr_kernarg_preload_offset 0
		.amdhsa_user_sgpr_private_segment_size 0
		.amdhsa_uses_dynamic_stack 0
		.amdhsa_enable_private_segment 0
		.amdhsa_system_sgpr_workgroup_id_x 1
		.amdhsa_system_sgpr_workgroup_id_y 0
		.amdhsa_system_sgpr_workgroup_id_z 0
		.amdhsa_system_sgpr_workgroup_info 0
		.amdhsa_system_vgpr_workitem_id 2
		.amdhsa_next_free_vgpr 27
		.amdhsa_next_free_sgpr 42
		.amdhsa_accum_offset 28
		.amdhsa_reserve_vcc 1
		.amdhsa_float_round_mode_32 0
		.amdhsa_float_round_mode_16_64 0
		.amdhsa_float_denorm_mode_32 3
		.amdhsa_float_denorm_mode_16_64 3
		.amdhsa_dx10_clamp 1
		.amdhsa_ieee_mode 1
		.amdhsa_fp16_overflow 0
		.amdhsa_tg_split 0
		.amdhsa_exception_fp_ieee_invalid_op 0
		.amdhsa_exception_fp_denorm_src 0
		.amdhsa_exception_fp_ieee_div_zero 0
		.amdhsa_exception_fp_ieee_overflow 0
		.amdhsa_exception_fp_ieee_underflow 0
		.amdhsa_exception_fp_ieee_inexact 0
		.amdhsa_exception_int_div_zero 0
	.end_amdhsa_kernel
	.section	.text._Z6kernelI9histogramILN6hipcub23BlockHistogramAlgorithmE1EEyLj320ELj1ELj320ELj100EEvPKT0_PS4_,"axG",@progbits,_Z6kernelI9histogramILN6hipcub23BlockHistogramAlgorithmE1EEyLj320ELj1ELj320ELj100EEvPKT0_PS4_,comdat
.Lfunc_end54:
	.size	_Z6kernelI9histogramILN6hipcub23BlockHistogramAlgorithmE1EEyLj320ELj1ELj320ELj100EEvPKT0_PS4_, .Lfunc_end54-_Z6kernelI9histogramILN6hipcub23BlockHistogramAlgorithmE1EEyLj320ELj1ELj320ELj100EEvPKT0_PS4_
                                        ; -- End function
	.section	.AMDGPU.csdata,"",@progbits
; Kernel info:
; codeLenInByte = 1680
; NumSgprs: 48
; NumVgprs: 27
; NumAgprs: 0
; TotalNumVgprs: 27
; ScratchSize: 0
; MemoryBound: 0
; FloatMode: 240
; IeeeMode: 1
; LDSByteSize: 10240 bytes/workgroup (compile time only)
; SGPRBlocks: 5
; VGPRBlocks: 3
; NumSGPRsForWavesPerEU: 48
; NumVGPRsForWavesPerEU: 27
; AccumOffset: 28
; Occupancy: 8
; WaveLimiterHint : 0
; COMPUTE_PGM_RSRC2:SCRATCH_EN: 0
; COMPUTE_PGM_RSRC2:USER_SGPR: 2
; COMPUTE_PGM_RSRC2:TRAP_HANDLER: 0
; COMPUTE_PGM_RSRC2:TGID_X_EN: 1
; COMPUTE_PGM_RSRC2:TGID_Y_EN: 0
; COMPUTE_PGM_RSRC2:TGID_Z_EN: 0
; COMPUTE_PGM_RSRC2:TIDIG_COMP_CNT: 2
; COMPUTE_PGM_RSRC3_GFX90A:ACCUM_OFFSET: 6
; COMPUTE_PGM_RSRC3_GFX90A:TG_SPLIT: 0
	.section	.text._Z6kernelI9histogramILN6hipcub23BlockHistogramAlgorithmE1EEyLj320ELj2ELj320ELj100EEvPKT0_PS4_,"axG",@progbits,_Z6kernelI9histogramILN6hipcub23BlockHistogramAlgorithmE1EEyLj320ELj2ELj320ELj100EEvPKT0_PS4_,comdat
	.protected	_Z6kernelI9histogramILN6hipcub23BlockHistogramAlgorithmE1EEyLj320ELj2ELj320ELj100EEvPKT0_PS4_ ; -- Begin function _Z6kernelI9histogramILN6hipcub23BlockHistogramAlgorithmE1EEyLj320ELj2ELj320ELj100EEvPKT0_PS4_
	.globl	_Z6kernelI9histogramILN6hipcub23BlockHistogramAlgorithmE1EEyLj320ELj2ELj320ELj100EEvPKT0_PS4_
	.p2align	8
	.type	_Z6kernelI9histogramILN6hipcub23BlockHistogramAlgorithmE1EEyLj320ELj2ELj320ELj100EEvPKT0_PS4_,@function
_Z6kernelI9histogramILN6hipcub23BlockHistogramAlgorithmE1EEyLj320ELj2ELj320ELj100EEvPKT0_PS4_: ; @_Z6kernelI9histogramILN6hipcub23BlockHistogramAlgorithmE1EEyLj320ELj2ELj320ELj100EEvPKT0_PS4_
; %bb.0:
	s_load_dwordx4 s[36:39], s[0:1], 0x0
	s_load_dword s4, s[0:1], 0x1c
	s_mulk_i32 s2, 0x140
	v_and_b32_e32 v10, 0x3ff, v0
	v_add_u32_e32 v6, s2, v10
	s_waitcnt lgkmcnt(0)
	v_mov_b32_e32 v2, s36
	v_mov_b32_e32 v3, s37
	v_lshlrev_b32_e32 v8, 1, v6
	v_mov_b32_e32 v9, 0
	v_lshl_add_u64 v[2:3], v[8:9], 3, v[2:3]
	global_load_dwordx4 v[2:5], v[2:3], off
	v_mbcnt_lo_u32_b32 v1, -1, 0
	v_mbcnt_hi_u32_b32 v8, -1, v1
	v_lshrrev_b32_e32 v1, 1, v8
	v_and_b32_e32 v11, 64, v8
	v_and_b32_e32 v7, 1, v8
	v_or_b32_e32 v1, v1, v11
	v_cmp_eq_u32_e64 s[2:3], 0, v7
	v_lshlrev_b32_e32 v7, 2, v1
	s_lshr_b32 s5, s4, 16
	v_bfe_u32 v1, v0, 10, 10
	v_bfe_u32 v0, v0, 20, 10
	s_and_b32 s4, s4, 0xffff
	v_mad_u32_u24 v0, v0, s5, v1
	v_mad_u64_u32 v[0:1], s[4:5], v0, s4, v[10:11]
	v_lshrrev_b32_e32 v15, 6, v0
	v_and_b32_e32 v0, 15, v8
	v_cmp_eq_u32_e64 s[4:5], 0, v0
	v_cmp_lt_u32_e64 s[6:7], 1, v0
	v_cmp_lt_u32_e64 s[8:9], 3, v0
	;; [unrolled: 1-line block ×3, first 2 shown]
	v_and_b32_e32 v0, 16, v8
	v_cmp_eq_u32_e64 s[12:13], 0, v0
	v_and_b32_e32 v0, 0x1c0, v10
	v_min_u32_e32 v0, 0x100, v0
	v_or_b32_e32 v0, 63, v0
	v_cmp_eq_u32_e64 s[16:17], v0, v10
	v_add_u32_e32 v0, -1, v8
	v_cmp_lt_i32_e32 vcc, v0, v11
	v_lshlrev_b32_e32 v21, 1, v10
	s_movk_i32 s36, 0x380
	v_cndmask_b32_e32 v0, v0, v8, vcc
	v_lshlrev_b32_e32 v16, 2, v0
	v_lshrrev_b32_e32 v0, 4, v10
	v_and_b32_e32 v17, 28, v0
	v_and_b32_e32 v0, 7, v8
	v_cmp_eq_u32_e64 s[28:29], 0, v0
	v_cmp_lt_u32_e64 s[30:31], 1, v0
	v_cmp_lt_u32_e64 s[34:35], 3, v0
	v_and_or_b32 v0, v21, s36, v8
	v_cmp_lt_u32_e64 s[14:15], 31, v8
	v_cmp_eq_u32_e64 s[22:23], 0, v8
	v_lshrrev_b32_e32 v8, 5, v0
	v_add_lshl_u32 v22, v8, v0, 3
	v_add_u32_e32 v8, 64, v0
	v_lshrrev_b32_e32 v8, 5, v8
	v_add_lshl_u32 v23, v8, v0, 3
	v_lshrrev_b32_e32 v0, 1, v10
	v_lshlrev_b32_e32 v13, 4, v10
	v_and_b32_e32 v0, 0xf8, v0
	v_lshlrev_b32_e32 v1, 2, v10
	v_mad_i32_i24 v18, v10, -12, v13
	v_add_u32_e32 v24, v13, v0
	v_mov_b32_e32 v0, 0x1e00
	s_movk_i32 s0, 0x140
	v_add_u32_e32 v25, v18, v1
	v_lshl_add_u32 v19, v10, 3, v0
	v_sub_u32_e32 v0, 0, v1
	v_cmp_gt_u32_e64 s[0:1], s0, v10
	s_mov_b32 s33, 0
	v_xor_b32_e32 v12, 0x80, v7
	v_add_u32_e32 v14, 20, v13
	v_cmp_gt_u32_e64 s[18:19], 5, v10
	v_cmp_lt_u32_e64 s[20:21], 63, v10
	v_cmp_eq_u32_e64 s[24:25], 0, v10
	v_cmp_ne_u32_e64 s[26:27], 0, v10
	v_add_u32_e32 v20, -4, v17
	v_or_b32_e32 v26, 1, v21
	v_add_u32_e32 v27, -8, v25
	v_mov_b32_e32 v28, 0x280
	v_mov_b32_e32 v29, 5
	v_add_u32_e32 v30, v25, v0
	s_branch .LBB55_2
.LBB55_1:                               ;   in Loop: Header=BB55_2 Depth=1
	s_or_b64 exec, exec, s[36:37]
	s_add_i32 s33, s33, 1
	s_cmpk_lg_i32 s33, 0x64
	s_cbranch_scc0 .LBB55_29
.LBB55_2:                               ; =>This Loop Header: Depth=1
                                        ;     Child Loop BB55_6 Depth 2
	s_and_saveexec_b64 s[36:37], s[0:1]
	s_cbranch_execz .LBB55_4
; %bb.3:                                ;   in Loop: Header=BB55_2 Depth=1
	v_mov_b32_e32 v8, v9
	ds_write_b64 v19, v[8:9]
.LBB55_4:                               ;   in Loop: Header=BB55_2 Depth=1
	s_or_b64 exec, exec, s[36:37]
	s_waitcnt vmcnt(0)
	ds_bpermute_b32 v0, v7, v2
	ds_bpermute_b32 v1, v7, v3
	;; [unrolled: 1-line block ×8, first 2 shown]
	s_waitcnt lgkmcnt(4)
	v_cndmask_b32_e64 v5, v10, v1, s[2:3]
	v_cndmask_b32_e64 v4, v8, v0, s[2:3]
	s_mov_b64 s[40:41], 0
	s_waitcnt lgkmcnt(1)
	v_cndmask_b32_e64 v11, v11, v3, s[2:3]
	s_waitcnt lgkmcnt(0)
	v_cndmask_b32_e64 v10, v31, v2, s[2:3]
	s_barrier
	s_barrier
	s_branch .LBB55_6
.LBB55_5:                               ;   in Loop: Header=BB55_6 Depth=2
	v_lshrrev_b32_e32 v4, 2, v31
	v_and_b32_e32 v4, 0x3ffffff8, v4
	v_lshl_add_u32 v4, v31, 3, v4
	s_barrier
	ds_write_b64 v4, v[2:3]
	v_lshrrev_b32_e32 v4, 2, v8
	v_and_b32_e32 v4, 0x3ffffff8, v4
	v_lshl_add_u32 v4, v8, 3, v4
	ds_write_b64 v4, v[0:1]
	s_waitcnt lgkmcnt(0)
	s_barrier
	ds_read_b64 v[4:5], v22
	ds_read_b64 v[10:11], v23 offset:512
	s_add_u32 s40, s40, 8
	s_addc_u32 s41, s41, 0
	s_waitcnt lgkmcnt(0)
	s_barrier
	s_cbranch_execz .LBB55_18
.LBB55_6:                               ;   Parent Loop BB55_2 Depth=1
                                        ; =>  This Inner Loop Header: Depth=2
	v_mov_b64_e32 v[2:3], v[4:5]
	v_lshrrev_b64 v[4:5], s40, v[2:3]
	v_and_b32_e32 v5, 0xff, v4
	v_and_b32_e32 v8, 1, v4
	v_mov_b64_e32 v[0:1], v[10:11]
	v_mad_u32_u24 v5, v5, 5, v15
	v_lshl_add_u64 v[10:11], v[8:9], 0, -1
	v_cmp_ne_u32_e32 vcc, 0, v8
	v_lshl_add_u32 v31, v5, 2, 20
	s_nop 0
	v_xor_b32_e32 v5, vcc_hi, v11
	v_xor_b32_e32 v8, vcc_lo, v10
	v_lshlrev_b32_e32 v11, 30, v4
	v_mov_b32_e32 v10, v9
	v_cmp_gt_i64_e32 vcc, 0, v[10:11]
	v_not_b32_e32 v10, v11
	v_ashrrev_i32_e32 v10, 31, v10
	v_and_b32_e32 v5, exec_hi, v5
	v_and_b32_e32 v8, exec_lo, v8
	v_xor_b32_e32 v11, vcc_hi, v10
	v_xor_b32_e32 v10, vcc_lo, v10
	v_and_b32_e32 v5, v5, v11
	v_and_b32_e32 v8, v8, v10
	v_lshlrev_b32_e32 v11, 29, v4
	v_mov_b32_e32 v10, v9
	v_cmp_gt_i64_e32 vcc, 0, v[10:11]
	v_not_b32_e32 v10, v11
	v_ashrrev_i32_e32 v10, 31, v10
	v_xor_b32_e32 v11, vcc_hi, v10
	v_xor_b32_e32 v10, vcc_lo, v10
	v_and_b32_e32 v5, v5, v11
	v_and_b32_e32 v8, v8, v10
	v_lshlrev_b32_e32 v11, 28, v4
	v_mov_b32_e32 v10, v9
	v_cmp_gt_i64_e32 vcc, 0, v[10:11]
	v_not_b32_e32 v10, v11
	v_ashrrev_i32_e32 v10, 31, v10
	;; [unrolled: 9-line block ×5, first 2 shown]
	v_xor_b32_e32 v11, vcc_hi, v10
	v_and_b32_e32 v11, v5, v11
	v_lshlrev_b32_e32 v5, 24, v4
	v_mov_b32_e32 v4, v9
	v_xor_b32_e32 v10, vcc_lo, v10
	v_cmp_gt_i64_e32 vcc, 0, v[4:5]
	v_not_b32_e32 v4, v5
	v_ashrrev_i32_e32 v4, 31, v4
	v_and_b32_e32 v8, v8, v10
	v_xor_b32_e32 v5, vcc_hi, v4
	v_xor_b32_e32 v4, vcc_lo, v4
	v_and_b32_e32 v4, v8, v4
	v_and_b32_e32 v5, v11, v5
	v_mbcnt_lo_u32_b32 v8, v4, 0
	v_mbcnt_hi_u32_b32 v32, v5, v8
	v_cmp_eq_u32_e32 vcc, 0, v32
	v_cmp_ne_u64_e64 s[36:37], 0, v[4:5]
	s_and_b64 s[42:43], s[36:37], vcc
	ds_write2_b32 v13, v9, v9 offset0:5 offset1:6
	ds_write2_b32 v14, v9, v9 offset0:2 offset1:3
	s_waitcnt lgkmcnt(0)
	s_barrier
	s_waitcnt lgkmcnt(0)
	; wave barrier
	s_and_saveexec_b64 s[36:37], s[42:43]
	s_cbranch_execz .LBB55_8
; %bb.7:                                ;   in Loop: Header=BB55_6 Depth=2
	v_bcnt_u32_b32 v4, v4, 0
	v_bcnt_u32_b32 v4, v5, v4
	ds_write_b32 v31, v4
.LBB55_8:                               ;   in Loop: Header=BB55_6 Depth=2
	s_or_b64 exec, exec, s[36:37]
	v_lshrrev_b64 v[4:5], s40, v[0:1]
	v_mul_u32_u24_sdwa v5, v4, v29 dst_sel:DWORD dst_unused:UNUSED_PAD src0_sel:BYTE_0 src1_sel:DWORD
	v_and_b32_e32 v8, 1, v4
	v_add_lshl_u32 v5, v5, v15, 2
	v_lshl_add_u64 v[10:11], v[8:9], 0, -1
	v_cmp_ne_u32_e32 vcc, 0, v8
	; wave barrier
	v_add_u32_e32 v34, 20, v5
	ds_read_b32 v33, v5 offset:20
	v_xor_b32_e32 v5, vcc_hi, v11
	v_xor_b32_e32 v8, vcc_lo, v10
	v_lshlrev_b32_e32 v11, 30, v4
	v_mov_b32_e32 v10, v9
	v_cmp_gt_i64_e32 vcc, 0, v[10:11]
	v_not_b32_e32 v10, v11
	v_ashrrev_i32_e32 v10, 31, v10
	v_and_b32_e32 v5, exec_hi, v5
	v_and_b32_e32 v8, exec_lo, v8
	v_xor_b32_e32 v11, vcc_hi, v10
	v_xor_b32_e32 v10, vcc_lo, v10
	v_and_b32_e32 v5, v5, v11
	v_and_b32_e32 v8, v8, v10
	v_lshlrev_b32_e32 v11, 29, v4
	v_mov_b32_e32 v10, v9
	v_cmp_gt_i64_e32 vcc, 0, v[10:11]
	v_not_b32_e32 v10, v11
	v_ashrrev_i32_e32 v10, 31, v10
	v_xor_b32_e32 v11, vcc_hi, v10
	v_xor_b32_e32 v10, vcc_lo, v10
	v_and_b32_e32 v5, v5, v11
	v_and_b32_e32 v8, v8, v10
	v_lshlrev_b32_e32 v11, 28, v4
	v_mov_b32_e32 v10, v9
	v_cmp_gt_i64_e32 vcc, 0, v[10:11]
	v_not_b32_e32 v10, v11
	v_ashrrev_i32_e32 v10, 31, v10
	;; [unrolled: 9-line block ×5, first 2 shown]
	v_xor_b32_e32 v11, vcc_hi, v10
	v_and_b32_e32 v11, v5, v11
	v_lshlrev_b32_e32 v5, 24, v4
	v_mov_b32_e32 v4, v9
	v_xor_b32_e32 v10, vcc_lo, v10
	v_cmp_gt_i64_e32 vcc, 0, v[4:5]
	v_not_b32_e32 v4, v5
	v_ashrrev_i32_e32 v4, 31, v4
	v_and_b32_e32 v8, v8, v10
	v_xor_b32_e32 v5, vcc_hi, v4
	v_xor_b32_e32 v4, vcc_lo, v4
	v_and_b32_e32 v4, v8, v4
	v_and_b32_e32 v5, v11, v5
	v_mbcnt_lo_u32_b32 v8, v4, 0
	v_mbcnt_hi_u32_b32 v8, v5, v8
	v_cmp_eq_u32_e32 vcc, 0, v8
	v_cmp_ne_u64_e64 s[36:37], 0, v[4:5]
	s_and_b64 s[42:43], s[36:37], vcc
	; wave barrier
	s_and_saveexec_b64 s[36:37], s[42:43]
	s_cbranch_execz .LBB55_10
; %bb.9:                                ;   in Loop: Header=BB55_6 Depth=2
	v_bcnt_u32_b32 v4, v4, 0
	v_bcnt_u32_b32 v4, v5, v4
	s_waitcnt lgkmcnt(0)
	v_add_u32_e32 v4, v33, v4
	ds_write_b32 v34, v4
.LBB55_10:                              ;   in Loop: Header=BB55_6 Depth=2
	s_or_b64 exec, exec, s[36:37]
	; wave barrier
	s_waitcnt lgkmcnt(0)
	s_barrier
	ds_read2_b32 v[10:11], v13 offset0:5 offset1:6
	ds_read2_b32 v[4:5], v14 offset0:2 offset1:3
	s_waitcnt lgkmcnt(1)
	v_add_u32_e32 v35, v11, v10
	s_waitcnt lgkmcnt(0)
	v_add3_u32 v5, v35, v4, v5
	s_nop 1
	v_mov_b32_dpp v35, v5 row_shr:1 row_mask:0xf bank_mask:0xf
	v_cndmask_b32_e64 v35, v35, 0, s[4:5]
	v_add_u32_e32 v5, v35, v5
	s_nop 1
	v_mov_b32_dpp v35, v5 row_shr:2 row_mask:0xf bank_mask:0xf
	v_cndmask_b32_e64 v35, 0, v35, s[6:7]
	v_add_u32_e32 v5, v5, v35
	s_nop 1
	v_mov_b32_dpp v35, v5 row_shr:4 row_mask:0xf bank_mask:0xf
	v_cndmask_b32_e64 v35, 0, v35, s[8:9]
	v_add_u32_e32 v5, v5, v35
	s_nop 1
	v_mov_b32_dpp v35, v5 row_shr:8 row_mask:0xf bank_mask:0xf
	v_cndmask_b32_e64 v35, 0, v35, s[10:11]
	v_add_u32_e32 v5, v5, v35
	s_nop 1
	v_mov_b32_dpp v35, v5 row_bcast:15 row_mask:0xf bank_mask:0xf
	v_cndmask_b32_e64 v35, v35, 0, s[12:13]
	v_add_u32_e32 v5, v5, v35
	s_nop 1
	v_mov_b32_dpp v35, v5 row_bcast:31 row_mask:0xf bank_mask:0xf
	v_cndmask_b32_e64 v35, 0, v35, s[14:15]
	v_add_u32_e32 v5, v5, v35
	s_and_saveexec_b64 s[36:37], s[16:17]
	s_cbranch_execz .LBB55_12
; %bb.11:                               ;   in Loop: Header=BB55_6 Depth=2
	ds_write_b32 v17, v5
.LBB55_12:                              ;   in Loop: Header=BB55_6 Depth=2
	s_or_b64 exec, exec, s[36:37]
	s_waitcnt lgkmcnt(0)
	s_barrier
	s_and_saveexec_b64 s[36:37], s[18:19]
	s_cbranch_execz .LBB55_14
; %bb.13:                               ;   in Loop: Header=BB55_6 Depth=2
	ds_read_b32 v35, v18
	s_waitcnt lgkmcnt(0)
	s_nop 0
	v_mov_b32_dpp v36, v35 row_shr:1 row_mask:0xf bank_mask:0xf
	v_cndmask_b32_e64 v36, v36, 0, s[28:29]
	v_add_u32_e32 v35, v36, v35
	s_nop 1
	v_mov_b32_dpp v36, v35 row_shr:2 row_mask:0xf bank_mask:0xf
	v_cndmask_b32_e64 v36, 0, v36, s[30:31]
	v_add_u32_e32 v35, v35, v36
	;; [unrolled: 4-line block ×3, first 2 shown]
	ds_write_b32 v18, v35
.LBB55_14:                              ;   in Loop: Header=BB55_6 Depth=2
	s_or_b64 exec, exec, s[36:37]
	v_mov_b32_e32 v35, 0
	s_waitcnt lgkmcnt(0)
	s_barrier
	s_and_saveexec_b64 s[36:37], s[20:21]
	s_cbranch_execz .LBB55_16
; %bb.15:                               ;   in Loop: Header=BB55_6 Depth=2
	ds_read_b32 v35, v20
.LBB55_16:                              ;   in Loop: Header=BB55_6 Depth=2
	s_or_b64 exec, exec, s[36:37]
	s_waitcnt lgkmcnt(0)
	v_add_u32_e32 v5, v35, v5
	ds_bpermute_b32 v5, v16, v5
	s_cmp_gt_u32 s40, 55
	s_waitcnt lgkmcnt(0)
	v_cndmask_b32_e64 v5, v5, v35, s[22:23]
	v_cndmask_b32_e64 v5, v5, 0, s[24:25]
	v_add_u32_e32 v10, v5, v10
	v_add_u32_e32 v11, v10, v11
	;; [unrolled: 1-line block ×3, first 2 shown]
	ds_write2_b32 v13, v5, v10 offset0:5 offset1:6
	ds_write2_b32 v14, v11, v4 offset0:2 offset1:3
	s_waitcnt lgkmcnt(0)
	s_barrier
	ds_read_b32 v4, v31
	ds_read_b32 v5, v34
	s_waitcnt lgkmcnt(1)
	v_add_u32_e32 v31, v4, v32
	s_waitcnt lgkmcnt(0)
	v_add3_u32 v8, v8, v33, v5
	s_cbranch_scc0 .LBB55_5
; %bb.17:                               ;   in Loop: Header=BB55_2 Depth=1
                                        ; implicit-def: $vgpr4_vgpr5
                                        ; implicit-def: $vgpr10_vgpr11
                                        ; implicit-def: $sgpr40_sgpr41
.LBB55_18:                              ;   in Loop: Header=BB55_2 Depth=1
	v_lshrrev_b32_e32 v4, 2, v31
	v_and_b32_e32 v4, 0x3ffffff8, v4
	v_lshl_add_u32 v4, v31, 3, v4
	s_barrier
	ds_write_b64 v4, v[2:3]
	v_lshrrev_b32_e32 v2, 2, v8
	v_and_b32_e32 v2, 0x3ffffff8, v2
	v_lshl_add_u32 v2, v8, 3, v2
	ds_write_b64 v2, v[0:1]
	s_waitcnt lgkmcnt(0)
	s_barrier
	ds_read2_b64 v[2:5], v24 offset1:1
	s_waitcnt lgkmcnt(0)
	s_barrier
	s_and_saveexec_b64 s[36:37], s[0:1]
	s_cbranch_execz .LBB55_20
; %bb.19:                               ;   in Loop: Header=BB55_2 Depth=1
	ds_write2st64_b32 v30, v28, v28 offset0:20 offset1:25
.LBB55_20:                              ;   in Loop: Header=BB55_2 Depth=1
	s_or_b64 exec, exec, s[36:37]
	v_cmp_ne_u32_e32 vcc, v2, v4
	v_lshlrev_b32_e32 v0, 2, v2
	s_waitcnt lgkmcnt(0)
	s_barrier
	ds_write_b64 v25, v[4:5]
	s_and_saveexec_b64 s[36:37], vcc
	s_cbranch_execz .LBB55_22
; %bb.21:                               ;   in Loop: Header=BB55_2 Depth=1
	v_lshlrev_b32_e32 v1, 2, v4
	ds_write_b32 v1, v26 offset:5120
	ds_write_b32 v0, v26 offset:6400
.LBB55_22:                              ;   in Loop: Header=BB55_2 Depth=1
	s_or_b64 exec, exec, s[36:37]
	s_waitcnt lgkmcnt(0)
	s_barrier
	s_and_saveexec_b64 s[36:37], s[26:27]
	s_cbranch_execz .LBB55_25
; %bb.23:                               ;   in Loop: Header=BB55_2 Depth=1
	ds_read_b32 v1, v27
	s_waitcnt lgkmcnt(0)
	v_cmp_ne_u32_e32 vcc, v2, v1
	s_and_b64 exec, exec, vcc
	s_cbranch_execz .LBB55_25
; %bb.24:                               ;   in Loop: Header=BB55_2 Depth=1
	ds_write_b32 v0, v21 offset:5120
	ds_read_b32 v1, v27
	s_waitcnt lgkmcnt(0)
	v_lshlrev_b32_e32 v1, 2, v1
	ds_write_b32 v1, v21 offset:6400
.LBB55_25:                              ;   in Loop: Header=BB55_2 Depth=1
	s_or_b64 exec, exec, s[36:37]
	s_waitcnt lgkmcnt(0)
	s_barrier
	s_and_saveexec_b64 s[36:37], s[24:25]
	s_cbranch_execz .LBB55_27
; %bb.26:                               ;   in Loop: Header=BB55_2 Depth=1
	ds_write_b32 v0, v9 offset:5120
.LBB55_27:                              ;   in Loop: Header=BB55_2 Depth=1
	s_or_b64 exec, exec, s[36:37]
	s_waitcnt lgkmcnt(0)
	s_barrier
	s_and_saveexec_b64 s[36:37], s[0:1]
	s_cbranch_execz .LBB55_1
; %bb.28:                               ;   in Loop: Header=BB55_2 Depth=1
	ds_read2st64_b32 v[0:1], v30 offset0:20 offset1:25
	ds_read_b64 v[10:11], v19
	s_waitcnt lgkmcnt(1)
	v_sub_u32_e32 v8, v1, v0
	s_waitcnt lgkmcnt(0)
	v_lshl_add_u64 v[0:1], v[10:11], 0, v[8:9]
	ds_write_b64 v19, v[0:1]
	s_branch .LBB55_1
.LBB55_29:
	s_and_saveexec_b64 s[2:3], s[0:1]
	s_cbranch_execz .LBB55_31
; %bb.30:
	ds_read_b64 v[0:1], v19
	v_mov_b32_e32 v2, s38
	v_mov_b32_e32 v3, s39
	;; [unrolled: 1-line block ×3, first 2 shown]
	v_lshl_add_u64 v[2:3], v[6:7], 3, v[2:3]
	s_waitcnt lgkmcnt(0)
	global_store_dwordx2 v[2:3], v[0:1], off
.LBB55_31:
	s_endpgm
	.section	.rodata,"a",@progbits
	.p2align	6, 0x0
	.amdhsa_kernel _Z6kernelI9histogramILN6hipcub23BlockHistogramAlgorithmE1EEyLj320ELj2ELj320ELj100EEvPKT0_PS4_
		.amdhsa_group_segment_fixed_size 10240
		.amdhsa_private_segment_fixed_size 0
		.amdhsa_kernarg_size 272
		.amdhsa_user_sgpr_count 2
		.amdhsa_user_sgpr_dispatch_ptr 0
		.amdhsa_user_sgpr_queue_ptr 0
		.amdhsa_user_sgpr_kernarg_segment_ptr 1
		.amdhsa_user_sgpr_dispatch_id 0
		.amdhsa_user_sgpr_kernarg_preload_length 0
		.amdhsa_user_sgpr_kernarg_preload_offset 0
		.amdhsa_user_sgpr_private_segment_size 0
		.amdhsa_uses_dynamic_stack 0
		.amdhsa_enable_private_segment 0
		.amdhsa_system_sgpr_workgroup_id_x 1
		.amdhsa_system_sgpr_workgroup_id_y 0
		.amdhsa_system_sgpr_workgroup_id_z 0
		.amdhsa_system_sgpr_workgroup_info 0
		.amdhsa_system_vgpr_workitem_id 2
		.amdhsa_next_free_vgpr 37
		.amdhsa_next_free_sgpr 44
		.amdhsa_accum_offset 40
		.amdhsa_reserve_vcc 1
		.amdhsa_float_round_mode_32 0
		.amdhsa_float_round_mode_16_64 0
		.amdhsa_float_denorm_mode_32 3
		.amdhsa_float_denorm_mode_16_64 3
		.amdhsa_dx10_clamp 1
		.amdhsa_ieee_mode 1
		.amdhsa_fp16_overflow 0
		.amdhsa_tg_split 0
		.amdhsa_exception_fp_ieee_invalid_op 0
		.amdhsa_exception_fp_denorm_src 0
		.amdhsa_exception_fp_ieee_div_zero 0
		.amdhsa_exception_fp_ieee_overflow 0
		.amdhsa_exception_fp_ieee_underflow 0
		.amdhsa_exception_fp_ieee_inexact 0
		.amdhsa_exception_int_div_zero 0
	.end_amdhsa_kernel
	.section	.text._Z6kernelI9histogramILN6hipcub23BlockHistogramAlgorithmE1EEyLj320ELj2ELj320ELj100EEvPKT0_PS4_,"axG",@progbits,_Z6kernelI9histogramILN6hipcub23BlockHistogramAlgorithmE1EEyLj320ELj2ELj320ELj100EEvPKT0_PS4_,comdat
.Lfunc_end55:
	.size	_Z6kernelI9histogramILN6hipcub23BlockHistogramAlgorithmE1EEyLj320ELj2ELj320ELj100EEvPKT0_PS4_, .Lfunc_end55-_Z6kernelI9histogramILN6hipcub23BlockHistogramAlgorithmE1EEyLj320ELj2ELj320ELj100EEvPKT0_PS4_
                                        ; -- End function
	.section	.AMDGPU.csdata,"",@progbits
; Kernel info:
; codeLenInByte = 2436
; NumSgprs: 50
; NumVgprs: 37
; NumAgprs: 0
; TotalNumVgprs: 37
; ScratchSize: 0
; MemoryBound: 0
; FloatMode: 240
; IeeeMode: 1
; LDSByteSize: 10240 bytes/workgroup (compile time only)
; SGPRBlocks: 6
; VGPRBlocks: 4
; NumSGPRsForWavesPerEU: 50
; NumVGPRsForWavesPerEU: 37
; AccumOffset: 40
; Occupancy: 8
; WaveLimiterHint : 0
; COMPUTE_PGM_RSRC2:SCRATCH_EN: 0
; COMPUTE_PGM_RSRC2:USER_SGPR: 2
; COMPUTE_PGM_RSRC2:TRAP_HANDLER: 0
; COMPUTE_PGM_RSRC2:TGID_X_EN: 1
; COMPUTE_PGM_RSRC2:TGID_Y_EN: 0
; COMPUTE_PGM_RSRC2:TGID_Z_EN: 0
; COMPUTE_PGM_RSRC2:TIDIG_COMP_CNT: 2
; COMPUTE_PGM_RSRC3_GFX90A:ACCUM_OFFSET: 9
; COMPUTE_PGM_RSRC3_GFX90A:TG_SPLIT: 0
	.section	.text._Z6kernelI9histogramILN6hipcub23BlockHistogramAlgorithmE1EEyLj320ELj3ELj320ELj100EEvPKT0_PS4_,"axG",@progbits,_Z6kernelI9histogramILN6hipcub23BlockHistogramAlgorithmE1EEyLj320ELj3ELj320ELj100EEvPKT0_PS4_,comdat
	.protected	_Z6kernelI9histogramILN6hipcub23BlockHistogramAlgorithmE1EEyLj320ELj3ELj320ELj100EEvPKT0_PS4_ ; -- Begin function _Z6kernelI9histogramILN6hipcub23BlockHistogramAlgorithmE1EEyLj320ELj3ELj320ELj100EEvPKT0_PS4_
	.globl	_Z6kernelI9histogramILN6hipcub23BlockHistogramAlgorithmE1EEyLj320ELj3ELj320ELj100EEvPKT0_PS4_
	.p2align	8
	.type	_Z6kernelI9histogramILN6hipcub23BlockHistogramAlgorithmE1EEyLj320ELj3ELj320ELj100EEvPKT0_PS4_,@function
_Z6kernelI9histogramILN6hipcub23BlockHistogramAlgorithmE1EEyLj320ELj3ELj320ELj100EEvPKT0_PS4_: ; @_Z6kernelI9histogramILN6hipcub23BlockHistogramAlgorithmE1EEyLj320ELj3ELj320ELj100EEvPKT0_PS4_
; %bb.0:
	s_load_dwordx4 s[36:39], s[0:1], 0x0
	s_load_dword s3, s[0:1], 0x1c
	s_mulk_i32 s2, 0x140
	v_and_b32_e32 v12, 0x3ff, v0
	v_add_u32_e32 v6, s2, v12
	v_lshl_add_u32 v8, v6, 1, v6
	v_mov_b32_e32 v9, 0
	s_waitcnt lgkmcnt(0)
	v_lshl_add_u64 v[14:15], v[8:9], 3, s[36:37]
	v_add_u32_e32 v2, 1, v8
	v_mov_b32_e32 v3, v9
	v_add_u32_e32 v8, 2, v8
	v_lshl_add_u64 v[16:17], v[2:3], 3, s[36:37]
	v_lshl_add_u64 v[18:19], v[8:9], 3, s[36:37]
	global_load_dwordx2 v[10:11], v[14:15], off
	global_load_dwordx2 v[2:3], v[16:17], off
	;; [unrolled: 1-line block ×3, first 2 shown]
	v_mbcnt_lo_u32_b32 v1, -1, 0
	v_lshrrev_b32_e32 v13, 6, v12
	v_mbcnt_hi_u32_b32 v8, -1, v1
	v_mul_u32_u24_e32 v1, 0xc0, v13
	v_lshlrev_b32_e32 v7, 3, v1
	v_add_lshl_u32 v16, v8, v1, 3
	s_lshr_b32 s2, s3, 16
	v_bfe_u32 v1, v0, 10, 10
	v_bfe_u32 v0, v0, 20, 10
	s_and_b32 s3, s3, 0xffff
	v_mad_u32_u24 v0, v0, s2, v1
	v_mad_u64_u32 v[0:1], s[2:3], v0, s3, v[12:13]
	v_lshrrev_b32_e32 v19, 6, v0
	v_and_b32_e32 v0, 15, v8
	v_cmp_eq_u32_e64 s[2:3], 0, v0
	v_cmp_lt_u32_e64 s[4:5], 1, v0
	v_cmp_lt_u32_e64 s[6:7], 3, v0
	;; [unrolled: 1-line block ×3, first 2 shown]
	v_and_b32_e32 v0, 16, v8
	v_cmp_eq_u32_e64 s[10:11], 0, v0
	v_and_b32_e32 v0, 0x1c0, v12
	v_min_u32_e32 v0, 0x100, v0
	v_or_b32_e32 v0, 63, v0
	v_cmp_eq_u32_e64 s[14:15], v0, v12
	v_add_u32_e32 v0, -1, v8
	v_and_b32_e32 v14, 64, v8
	v_cmp_lt_i32_e32 vcc, v0, v14
	v_lshlrev_b32_e32 v1, 2, v12
	v_lshlrev_b32_e32 v17, 4, v12
	v_cndmask_b32_e32 v0, v0, v8, vcc
	v_lshlrev_b32_e32 v20, 2, v0
	v_mul_i32_i24_e32 v0, -12, v12
	v_mad_u32_u24 v29, v12, 20, v0
	v_mov_b32_e32 v0, 0x1e00
	s_movk_i32 s0, 0x140
	v_mad_u32_u24 v7, v8, 24, v7
	v_cmp_lt_u32_e64 s[12:13], 31, v8
	v_cmp_eq_u32_e64 s[20:21], 0, v8
	v_lshlrev_b32_e32 v22, 2, v13
	v_mad_i32_i24 v23, v12, -12, v17
	v_and_b32_e32 v8, 7, v8
	v_lshl_add_u32 v21, v12, 3, v0
	v_sub_u32_e32 v0, 0, v1
	s_mov_b32 s33, 0
	v_cmp_gt_u32_e64 s[0:1], s0, v12
	v_add_u32_e32 v18, 20, v17
	v_cmp_gt_u32_e64 s[16:17], 5, v12
	v_cmp_lt_u32_e64 s[18:19], 63, v12
	v_cmp_eq_u32_e64 s[22:23], 0, v12
	v_cmp_ne_u32_e64 s[24:25], 0, v12
	v_cmp_eq_u32_e64 s[26:27], 0, v8
	v_cmp_lt_u32_e64 s[28:29], 1, v8
	v_cmp_lt_u32_e64 s[30:31], 3, v8
	v_add_u32_e32 v24, -4, v22
	v_mul_u32_u24_e32 v25, 3, v12
	v_mad_u32_u24 v26, v12, 20, v23
	v_mad_u32_u24 v27, v12, 3, 1
	v_mad_u32_u24 v28, v12, 3, 2
	v_add_u32_e32 v30, -8, v29
	v_mov_b32_e32 v31, 0x3c0
	v_mov_b32_e32 v32, 5
	v_add_u32_e32 v33, v29, v0
	s_branch .LBB56_2
.LBB56_1:                               ;   in Loop: Header=BB56_2 Depth=1
	s_or_b64 exec, exec, s[34:35]
	s_add_i32 s33, s33, 1
	s_cmpk_lg_i32 s33, 0x64
	s_cbranch_scc0 .LBB56_33
.LBB56_2:                               ; =>This Loop Header: Depth=1
                                        ;     Child Loop BB56_6 Depth 2
	s_and_saveexec_b64 s[34:35], s[0:1]
	s_cbranch_execz .LBB56_4
; %bb.3:                                ;   in Loop: Header=BB56_2 Depth=1
	v_mov_b32_e32 v8, v9
	ds_write_b64 v21, v[8:9]
.LBB56_4:                               ;   in Loop: Header=BB56_2 Depth=1
	s_or_b64 exec, exec, s[34:35]
	s_waitcnt vmcnt(1)
	v_mov_b32_e32 v0, v2
	v_mov_b32_e32 v1, v3
	s_waitcnt lgkmcnt(0)
	s_barrier
	ds_write2_b64 v7, v[10:11], v[0:1] offset1:1
	s_waitcnt vmcnt(0)
	ds_write_b64 v7, v[4:5] offset:16
	; wave barrier
	ds_read2st64_b64 v[0:3], v16 offset1:1
	ds_read_b64 v[14:15], v16 offset:1024
	s_mov_b64 s[36:37], 0
	s_waitcnt lgkmcnt(0)
	s_barrier
	s_waitcnt lgkmcnt(0)
	; wave barrier
	s_barrier
	s_branch .LBB56_6
.LBB56_5:                               ;   in Loop: Header=BB56_6 Depth=2
	v_lshlrev_b32_e32 v0, 3, v35
	s_barrier
	ds_write_b64 v0, v[12:13]
	v_lshlrev_b32_e32 v0, 3, v34
	ds_write_b64 v0, v[10:11]
	v_lshlrev_b32_e32 v0, 3, v8
	ds_write_b64 v0, v[4:5]
	s_waitcnt lgkmcnt(0)
	s_barrier
	ds_read2st64_b64 v[0:3], v16 offset1:1
	ds_read_b64 v[14:15], v16 offset:1024
	s_add_u32 s36, s36, 8
	s_addc_u32 s37, s37, 0
	s_waitcnt lgkmcnt(0)
	s_barrier
	s_cbranch_execz .LBB56_20
.LBB56_6:                               ;   Parent Loop BB56_2 Depth=1
                                        ; =>  This Inner Loop Header: Depth=2
	v_mov_b64_e32 v[12:13], v[0:1]
	v_lshrrev_b64 v[0:1], s36, v[12:13]
	v_and_b32_e32 v8, 1, v0
	v_mov_b64_e32 v[10:11], v[2:3]
	v_and_b32_e32 v1, 0xff, v0
	v_lshl_add_u64 v[2:3], v[8:9], 0, -1
	v_cmp_ne_u32_e32 vcc, 0, v8
	v_mad_u32_u24 v1, v1, 5, v19
	v_mov_b64_e32 v[4:5], v[14:15]
	v_xor_b32_e32 v2, vcc_lo, v2
	v_lshl_add_u32 v14, v1, 2, 20
	v_xor_b32_e32 v1, vcc_hi, v3
	v_and_b32_e32 v8, exec_lo, v2
	v_lshlrev_b32_e32 v3, 30, v0
	v_mov_b32_e32 v2, v9
	v_cmp_gt_i64_e32 vcc, 0, v[2:3]
	v_not_b32_e32 v2, v3
	v_ashrrev_i32_e32 v2, 31, v2
	v_and_b32_e32 v1, exec_hi, v1
	v_xor_b32_e32 v3, vcc_hi, v2
	v_xor_b32_e32 v2, vcc_lo, v2
	v_and_b32_e32 v1, v1, v3
	v_and_b32_e32 v8, v8, v2
	v_lshlrev_b32_e32 v3, 29, v0
	v_mov_b32_e32 v2, v9
	v_cmp_gt_i64_e32 vcc, 0, v[2:3]
	v_not_b32_e32 v2, v3
	v_ashrrev_i32_e32 v2, 31, v2
	v_xor_b32_e32 v3, vcc_hi, v2
	v_xor_b32_e32 v2, vcc_lo, v2
	v_and_b32_e32 v1, v1, v3
	v_and_b32_e32 v8, v8, v2
	v_lshlrev_b32_e32 v3, 28, v0
	v_mov_b32_e32 v2, v9
	v_cmp_gt_i64_e32 vcc, 0, v[2:3]
	v_not_b32_e32 v2, v3
	v_ashrrev_i32_e32 v2, 31, v2
	;; [unrolled: 9-line block ×5, first 2 shown]
	v_xor_b32_e32 v3, vcc_hi, v2
	v_and_b32_e32 v3, v1, v3
	v_lshlrev_b32_e32 v1, 24, v0
	v_mov_b32_e32 v0, v9
	v_xor_b32_e32 v2, vcc_lo, v2
	v_cmp_gt_i64_e32 vcc, 0, v[0:1]
	v_not_b32_e32 v0, v1
	v_ashrrev_i32_e32 v0, 31, v0
	v_and_b32_e32 v2, v8, v2
	v_xor_b32_e32 v1, vcc_hi, v0
	v_xor_b32_e32 v0, vcc_lo, v0
	v_and_b32_e32 v0, v2, v0
	v_and_b32_e32 v1, v3, v1
	v_mbcnt_lo_u32_b32 v2, v0, 0
	v_mbcnt_hi_u32_b32 v15, v1, v2
	v_cmp_eq_u32_e32 vcc, 0, v15
	v_cmp_ne_u64_e64 s[34:35], 0, v[0:1]
	s_and_b64 s[40:41], s[34:35], vcc
	ds_write2_b32 v17, v9, v9 offset0:5 offset1:6
	ds_write2_b32 v18, v9, v9 offset0:2 offset1:3
	s_waitcnt lgkmcnt(0)
	s_barrier
	s_waitcnt lgkmcnt(0)
	; wave barrier
	s_and_saveexec_b64 s[34:35], s[40:41]
	s_cbranch_execz .LBB56_8
; %bb.7:                                ;   in Loop: Header=BB56_6 Depth=2
	v_bcnt_u32_b32 v0, v0, 0
	v_bcnt_u32_b32 v0, v1, v0
	ds_write_b32 v14, v0
.LBB56_8:                               ;   in Loop: Header=BB56_6 Depth=2
	s_or_b64 exec, exec, s[34:35]
	v_lshrrev_b64 v[0:1], s36, v[10:11]
	v_and_b32_e32 v8, 1, v0
	v_mul_u32_u24_sdwa v1, v0, v32 dst_sel:DWORD dst_unused:UNUSED_PAD src0_sel:BYTE_0 src1_sel:DWORD
	v_lshl_add_u64 v[2:3], v[8:9], 0, -1
	v_cmp_ne_u32_e32 vcc, 0, v8
	v_add_lshl_u32 v1, v1, v19, 2
	s_nop 0
	v_xor_b32_e32 v2, vcc_lo, v2
	; wave barrier
	v_add_u32_e32 v35, 20, v1
	ds_read_b32 v34, v1 offset:20
	v_xor_b32_e32 v1, vcc_hi, v3
	v_and_b32_e32 v8, exec_lo, v2
	v_lshlrev_b32_e32 v3, 30, v0
	v_mov_b32_e32 v2, v9
	v_cmp_gt_i64_e32 vcc, 0, v[2:3]
	v_not_b32_e32 v2, v3
	v_ashrrev_i32_e32 v2, 31, v2
	v_and_b32_e32 v1, exec_hi, v1
	v_xor_b32_e32 v3, vcc_hi, v2
	v_xor_b32_e32 v2, vcc_lo, v2
	v_and_b32_e32 v1, v1, v3
	v_and_b32_e32 v8, v8, v2
	v_lshlrev_b32_e32 v3, 29, v0
	v_mov_b32_e32 v2, v9
	v_cmp_gt_i64_e32 vcc, 0, v[2:3]
	v_not_b32_e32 v2, v3
	v_ashrrev_i32_e32 v2, 31, v2
	v_xor_b32_e32 v3, vcc_hi, v2
	v_xor_b32_e32 v2, vcc_lo, v2
	v_and_b32_e32 v1, v1, v3
	v_and_b32_e32 v8, v8, v2
	v_lshlrev_b32_e32 v3, 28, v0
	v_mov_b32_e32 v2, v9
	v_cmp_gt_i64_e32 vcc, 0, v[2:3]
	v_not_b32_e32 v2, v3
	v_ashrrev_i32_e32 v2, 31, v2
	;; [unrolled: 9-line block ×5, first 2 shown]
	v_xor_b32_e32 v3, vcc_hi, v2
	v_and_b32_e32 v3, v1, v3
	v_lshlrev_b32_e32 v1, 24, v0
	v_mov_b32_e32 v0, v9
	v_xor_b32_e32 v2, vcc_lo, v2
	v_cmp_gt_i64_e32 vcc, 0, v[0:1]
	v_not_b32_e32 v0, v1
	v_ashrrev_i32_e32 v0, 31, v0
	v_and_b32_e32 v2, v8, v2
	v_xor_b32_e32 v1, vcc_hi, v0
	v_xor_b32_e32 v0, vcc_lo, v0
	v_and_b32_e32 v0, v2, v0
	v_and_b32_e32 v1, v3, v1
	v_mbcnt_lo_u32_b32 v2, v0, 0
	v_mbcnt_hi_u32_b32 v36, v1, v2
	v_cmp_eq_u32_e32 vcc, 0, v36
	v_cmp_ne_u64_e64 s[34:35], 0, v[0:1]
	s_and_b64 s[40:41], s[34:35], vcc
	; wave barrier
	s_and_saveexec_b64 s[34:35], s[40:41]
	s_cbranch_execz .LBB56_10
; %bb.9:                                ;   in Loop: Header=BB56_6 Depth=2
	v_bcnt_u32_b32 v0, v0, 0
	v_bcnt_u32_b32 v0, v1, v0
	s_waitcnt lgkmcnt(0)
	v_add_u32_e32 v0, v34, v0
	ds_write_b32 v35, v0
.LBB56_10:                              ;   in Loop: Header=BB56_6 Depth=2
	s_or_b64 exec, exec, s[34:35]
	v_lshrrev_b64 v[0:1], s36, v[4:5]
	v_and_b32_e32 v8, 1, v0
	v_mul_u32_u24_sdwa v1, v0, v32 dst_sel:DWORD dst_unused:UNUSED_PAD src0_sel:BYTE_0 src1_sel:DWORD
	v_lshl_add_u64 v[2:3], v[8:9], 0, -1
	v_cmp_ne_u32_e32 vcc, 0, v8
	v_add_lshl_u32 v1, v1, v19, 2
	s_nop 0
	v_xor_b32_e32 v2, vcc_lo, v2
	; wave barrier
	v_add_u32_e32 v38, 20, v1
	ds_read_b32 v37, v1 offset:20
	v_xor_b32_e32 v1, vcc_hi, v3
	v_and_b32_e32 v8, exec_lo, v2
	v_lshlrev_b32_e32 v3, 30, v0
	v_mov_b32_e32 v2, v9
	v_cmp_gt_i64_e32 vcc, 0, v[2:3]
	v_not_b32_e32 v2, v3
	v_ashrrev_i32_e32 v2, 31, v2
	v_and_b32_e32 v1, exec_hi, v1
	v_xor_b32_e32 v3, vcc_hi, v2
	v_xor_b32_e32 v2, vcc_lo, v2
	v_and_b32_e32 v1, v1, v3
	v_and_b32_e32 v8, v8, v2
	v_lshlrev_b32_e32 v3, 29, v0
	v_mov_b32_e32 v2, v9
	v_cmp_gt_i64_e32 vcc, 0, v[2:3]
	v_not_b32_e32 v2, v3
	v_ashrrev_i32_e32 v2, 31, v2
	v_xor_b32_e32 v3, vcc_hi, v2
	v_xor_b32_e32 v2, vcc_lo, v2
	v_and_b32_e32 v1, v1, v3
	v_and_b32_e32 v8, v8, v2
	v_lshlrev_b32_e32 v3, 28, v0
	v_mov_b32_e32 v2, v9
	v_cmp_gt_i64_e32 vcc, 0, v[2:3]
	v_not_b32_e32 v2, v3
	v_ashrrev_i32_e32 v2, 31, v2
	;; [unrolled: 9-line block ×5, first 2 shown]
	v_xor_b32_e32 v3, vcc_hi, v2
	v_and_b32_e32 v3, v1, v3
	v_lshlrev_b32_e32 v1, 24, v0
	v_mov_b32_e32 v0, v9
	v_xor_b32_e32 v2, vcc_lo, v2
	v_cmp_gt_i64_e32 vcc, 0, v[0:1]
	v_not_b32_e32 v0, v1
	v_ashrrev_i32_e32 v0, 31, v0
	v_and_b32_e32 v2, v8, v2
	v_xor_b32_e32 v1, vcc_hi, v0
	v_xor_b32_e32 v0, vcc_lo, v0
	v_and_b32_e32 v0, v2, v0
	v_and_b32_e32 v1, v3, v1
	v_mbcnt_lo_u32_b32 v2, v0, 0
	v_mbcnt_hi_u32_b32 v8, v1, v2
	v_cmp_eq_u32_e32 vcc, 0, v8
	v_cmp_ne_u64_e64 s[34:35], 0, v[0:1]
	s_and_b64 s[40:41], s[34:35], vcc
	; wave barrier
	s_and_saveexec_b64 s[34:35], s[40:41]
	s_cbranch_execz .LBB56_12
; %bb.11:                               ;   in Loop: Header=BB56_6 Depth=2
	v_bcnt_u32_b32 v0, v0, 0
	v_bcnt_u32_b32 v0, v1, v0
	s_waitcnt lgkmcnt(0)
	v_add_u32_e32 v0, v37, v0
	ds_write_b32 v38, v0
.LBB56_12:                              ;   in Loop: Header=BB56_6 Depth=2
	s_or_b64 exec, exec, s[34:35]
	; wave barrier
	s_waitcnt lgkmcnt(0)
	s_barrier
	ds_read2_b32 v[2:3], v17 offset0:5 offset1:6
	ds_read2_b32 v[0:1], v18 offset0:2 offset1:3
	s_waitcnt lgkmcnt(1)
	v_add_u32_e32 v39, v3, v2
	s_waitcnt lgkmcnt(0)
	v_add3_u32 v1, v39, v0, v1
	s_nop 1
	v_mov_b32_dpp v39, v1 row_shr:1 row_mask:0xf bank_mask:0xf
	v_cndmask_b32_e64 v39, v39, 0, s[2:3]
	v_add_u32_e32 v1, v39, v1
	s_nop 1
	v_mov_b32_dpp v39, v1 row_shr:2 row_mask:0xf bank_mask:0xf
	v_cndmask_b32_e64 v39, 0, v39, s[4:5]
	v_add_u32_e32 v1, v1, v39
	;; [unrolled: 4-line block ×4, first 2 shown]
	s_nop 1
	v_mov_b32_dpp v39, v1 row_bcast:15 row_mask:0xf bank_mask:0xf
	v_cndmask_b32_e64 v39, v39, 0, s[10:11]
	v_add_u32_e32 v1, v1, v39
	s_nop 1
	v_mov_b32_dpp v39, v1 row_bcast:31 row_mask:0xf bank_mask:0xf
	v_cndmask_b32_e64 v39, 0, v39, s[12:13]
	v_add_u32_e32 v1, v1, v39
	s_and_saveexec_b64 s[34:35], s[14:15]
	s_cbranch_execz .LBB56_14
; %bb.13:                               ;   in Loop: Header=BB56_6 Depth=2
	ds_write_b32 v22, v1
.LBB56_14:                              ;   in Loop: Header=BB56_6 Depth=2
	s_or_b64 exec, exec, s[34:35]
	s_waitcnt lgkmcnt(0)
	s_barrier
	s_and_saveexec_b64 s[34:35], s[16:17]
	s_cbranch_execz .LBB56_16
; %bb.15:                               ;   in Loop: Header=BB56_6 Depth=2
	ds_read_b32 v39, v23
	s_waitcnt lgkmcnt(0)
	s_nop 0
	v_mov_b32_dpp v40, v39 row_shr:1 row_mask:0xf bank_mask:0xf
	v_cndmask_b32_e64 v40, v40, 0, s[26:27]
	v_add_u32_e32 v39, v40, v39
	s_nop 1
	v_mov_b32_dpp v40, v39 row_shr:2 row_mask:0xf bank_mask:0xf
	v_cndmask_b32_e64 v40, 0, v40, s[28:29]
	v_add_u32_e32 v39, v39, v40
	;; [unrolled: 4-line block ×3, first 2 shown]
	ds_write_b32 v23, v39
.LBB56_16:                              ;   in Loop: Header=BB56_6 Depth=2
	s_or_b64 exec, exec, s[34:35]
	v_mov_b32_e32 v39, 0
	s_waitcnt lgkmcnt(0)
	s_barrier
	s_and_saveexec_b64 s[34:35], s[18:19]
	s_cbranch_execz .LBB56_18
; %bb.17:                               ;   in Loop: Header=BB56_6 Depth=2
	ds_read_b32 v39, v24
.LBB56_18:                              ;   in Loop: Header=BB56_6 Depth=2
	s_or_b64 exec, exec, s[34:35]
	s_waitcnt lgkmcnt(0)
	v_add_u32_e32 v1, v39, v1
	ds_bpermute_b32 v1, v20, v1
	s_cmp_gt_u32 s36, 55
	s_waitcnt lgkmcnt(0)
	v_cndmask_b32_e64 v1, v1, v39, s[20:21]
	v_cndmask_b32_e64 v1, v1, 0, s[22:23]
	v_add_u32_e32 v2, v1, v2
	v_add_u32_e32 v3, v2, v3
	v_add_u32_e32 v0, v3, v0
	ds_write2_b32 v17, v1, v2 offset0:5 offset1:6
	ds_write2_b32 v18, v3, v0 offset0:2 offset1:3
	s_waitcnt lgkmcnt(0)
	s_barrier
	ds_read_b32 v0, v14
	ds_read_b32 v1, v35
	;; [unrolled: 1-line block ×3, first 2 shown]
	s_waitcnt lgkmcnt(2)
	v_add_u32_e32 v35, v0, v15
	s_waitcnt lgkmcnt(1)
	v_add3_u32 v34, v36, v34, v1
	s_waitcnt lgkmcnt(0)
	v_add3_u32 v8, v8, v37, v2
	s_cbranch_scc0 .LBB56_5
; %bb.19:                               ;   in Loop: Header=BB56_2 Depth=1
                                        ; implicit-def: $vgpr14_vgpr15
                                        ; implicit-def: $vgpr2_vgpr3
                                        ; implicit-def: $sgpr36_sgpr37
.LBB56_20:                              ;   in Loop: Header=BB56_2 Depth=1
	v_lshlrev_b32_e32 v0, 3, v35
	s_barrier
	ds_write_b64 v0, v[12:13]
	v_lshlrev_b32_e32 v0, 3, v34
	ds_write_b64 v0, v[10:11]
	v_lshlrev_b32_e32 v0, 3, v8
	ds_write_b64 v0, v[4:5]
	s_waitcnt lgkmcnt(0)
	s_barrier
	ds_read_b64 v[10:11], v26
	ds_read2_b64 v[2:5], v26 offset0:1 offset1:2
	s_waitcnt lgkmcnt(0)
	s_barrier
	s_and_saveexec_b64 s[34:35], s[0:1]
	s_cbranch_execz .LBB56_22
; %bb.21:                               ;   in Loop: Header=BB56_2 Depth=1
	ds_write2st64_b32 v33, v31, v31 offset0:20 offset1:25
.LBB56_22:                              ;   in Loop: Header=BB56_2 Depth=1
	s_or_b64 exec, exec, s[34:35]
	v_cmp_ne_u32_e32 vcc, v2, v4
	v_lshlrev_b32_e32 v1, 2, v2
	s_waitcnt lgkmcnt(0)
	s_barrier
	ds_write_b64 v29, v[4:5]
	s_and_saveexec_b64 s[34:35], vcc
	s_cbranch_execz .LBB56_24
; %bb.23:                               ;   in Loop: Header=BB56_2 Depth=1
	v_lshlrev_b32_e32 v0, 2, v4
	ds_write_b32 v0, v28 offset:5120
	ds_write_b32 v1, v28 offset:6400
.LBB56_24:                              ;   in Loop: Header=BB56_2 Depth=1
	s_or_b64 exec, exec, s[34:35]
	v_cmp_ne_u32_e32 vcc, v2, v10
	v_lshlrev_b32_e32 v0, 2, v10
	s_and_saveexec_b64 s[34:35], vcc
	s_cbranch_execz .LBB56_26
; %bb.25:                               ;   in Loop: Header=BB56_2 Depth=1
	ds_write_b32 v1, v27 offset:5120
	ds_write_b32 v0, v27 offset:6400
.LBB56_26:                              ;   in Loop: Header=BB56_2 Depth=1
	s_or_b64 exec, exec, s[34:35]
	s_waitcnt lgkmcnt(0)
	s_barrier
	s_and_saveexec_b64 s[34:35], s[24:25]
	s_cbranch_execz .LBB56_29
; %bb.27:                               ;   in Loop: Header=BB56_2 Depth=1
	ds_read_b32 v1, v30
	s_waitcnt lgkmcnt(0)
	v_cmp_ne_u32_e32 vcc, v1, v10
	s_and_b64 exec, exec, vcc
	s_cbranch_execz .LBB56_29
; %bb.28:                               ;   in Loop: Header=BB56_2 Depth=1
	ds_write_b32 v0, v25 offset:5120
	ds_read_b32 v1, v30
	s_waitcnt lgkmcnt(0)
	v_lshlrev_b32_e32 v1, 2, v1
	ds_write_b32 v1, v25 offset:6400
.LBB56_29:                              ;   in Loop: Header=BB56_2 Depth=1
	s_or_b64 exec, exec, s[34:35]
	s_waitcnt lgkmcnt(0)
	s_barrier
	s_and_saveexec_b64 s[34:35], s[22:23]
	s_cbranch_execz .LBB56_31
; %bb.30:                               ;   in Loop: Header=BB56_2 Depth=1
	ds_write_b32 v0, v9 offset:5120
.LBB56_31:                              ;   in Loop: Header=BB56_2 Depth=1
	s_or_b64 exec, exec, s[34:35]
	s_waitcnt lgkmcnt(0)
	s_barrier
	s_and_saveexec_b64 s[34:35], s[0:1]
	s_cbranch_execz .LBB56_1
; %bb.32:                               ;   in Loop: Header=BB56_2 Depth=1
	ds_read2st64_b32 v[0:1], v33 offset0:20 offset1:25
	ds_read_b64 v[12:13], v21
	s_waitcnt lgkmcnt(1)
	v_sub_u32_e32 v8, v1, v0
	s_waitcnt lgkmcnt(0)
	v_lshl_add_u64 v[0:1], v[12:13], 0, v[8:9]
	ds_write_b64 v21, v[0:1]
	s_branch .LBB56_1
.LBB56_33:
	s_and_saveexec_b64 s[2:3], s[0:1]
	s_cbranch_execz .LBB56_35
; %bb.34:
	ds_read_b64 v[0:1], v21
	v_mov_b32_e32 v2, s38
	v_mov_b32_e32 v3, s39
	;; [unrolled: 1-line block ×3, first 2 shown]
	v_lshl_add_u64 v[2:3], v[6:7], 3, v[2:3]
	s_waitcnt lgkmcnt(0)
	global_store_dwordx2 v[2:3], v[0:1], off
.LBB56_35:
	s_endpgm
	.section	.rodata,"a",@progbits
	.p2align	6, 0x0
	.amdhsa_kernel _Z6kernelI9histogramILN6hipcub23BlockHistogramAlgorithmE1EEyLj320ELj3ELj320ELj100EEvPKT0_PS4_
		.amdhsa_group_segment_fixed_size 10240
		.amdhsa_private_segment_fixed_size 0
		.amdhsa_kernarg_size 272
		.amdhsa_user_sgpr_count 2
		.amdhsa_user_sgpr_dispatch_ptr 0
		.amdhsa_user_sgpr_queue_ptr 0
		.amdhsa_user_sgpr_kernarg_segment_ptr 1
		.amdhsa_user_sgpr_dispatch_id 0
		.amdhsa_user_sgpr_kernarg_preload_length 0
		.amdhsa_user_sgpr_kernarg_preload_offset 0
		.amdhsa_user_sgpr_private_segment_size 0
		.amdhsa_uses_dynamic_stack 0
		.amdhsa_enable_private_segment 0
		.amdhsa_system_sgpr_workgroup_id_x 1
		.amdhsa_system_sgpr_workgroup_id_y 0
		.amdhsa_system_sgpr_workgroup_id_z 0
		.amdhsa_system_sgpr_workgroup_info 0
		.amdhsa_system_vgpr_workitem_id 2
		.amdhsa_next_free_vgpr 41
		.amdhsa_next_free_sgpr 42
		.amdhsa_accum_offset 44
		.amdhsa_reserve_vcc 1
		.amdhsa_float_round_mode_32 0
		.amdhsa_float_round_mode_16_64 0
		.amdhsa_float_denorm_mode_32 3
		.amdhsa_float_denorm_mode_16_64 3
		.amdhsa_dx10_clamp 1
		.amdhsa_ieee_mode 1
		.amdhsa_fp16_overflow 0
		.amdhsa_tg_split 0
		.amdhsa_exception_fp_ieee_invalid_op 0
		.amdhsa_exception_fp_denorm_src 0
		.amdhsa_exception_fp_ieee_div_zero 0
		.amdhsa_exception_fp_ieee_overflow 0
		.amdhsa_exception_fp_ieee_underflow 0
		.amdhsa_exception_fp_ieee_inexact 0
		.amdhsa_exception_int_div_zero 0
	.end_amdhsa_kernel
	.section	.text._Z6kernelI9histogramILN6hipcub23BlockHistogramAlgorithmE1EEyLj320ELj3ELj320ELj100EEvPKT0_PS4_,"axG",@progbits,_Z6kernelI9histogramILN6hipcub23BlockHistogramAlgorithmE1EEyLj320ELj3ELj320ELj100EEvPKT0_PS4_,comdat
.Lfunc_end56:
	.size	_Z6kernelI9histogramILN6hipcub23BlockHistogramAlgorithmE1EEyLj320ELj3ELj320ELj100EEvPKT0_PS4_, .Lfunc_end56-_Z6kernelI9histogramILN6hipcub23BlockHistogramAlgorithmE1EEyLj320ELj3ELj320ELj100EEvPKT0_PS4_
                                        ; -- End function
	.section	.AMDGPU.csdata,"",@progbits
; Kernel info:
; codeLenInByte = 2824
; NumSgprs: 48
; NumVgprs: 41
; NumAgprs: 0
; TotalNumVgprs: 41
; ScratchSize: 0
; MemoryBound: 0
; FloatMode: 240
; IeeeMode: 1
; LDSByteSize: 10240 bytes/workgroup (compile time only)
; SGPRBlocks: 5
; VGPRBlocks: 5
; NumSGPRsForWavesPerEU: 48
; NumVGPRsForWavesPerEU: 41
; AccumOffset: 44
; Occupancy: 8
; WaveLimiterHint : 0
; COMPUTE_PGM_RSRC2:SCRATCH_EN: 0
; COMPUTE_PGM_RSRC2:USER_SGPR: 2
; COMPUTE_PGM_RSRC2:TRAP_HANDLER: 0
; COMPUTE_PGM_RSRC2:TGID_X_EN: 1
; COMPUTE_PGM_RSRC2:TGID_Y_EN: 0
; COMPUTE_PGM_RSRC2:TGID_Z_EN: 0
; COMPUTE_PGM_RSRC2:TIDIG_COMP_CNT: 2
; COMPUTE_PGM_RSRC3_GFX90A:ACCUM_OFFSET: 10
; COMPUTE_PGM_RSRC3_GFX90A:TG_SPLIT: 0
	.section	.text._Z6kernelI9histogramILN6hipcub23BlockHistogramAlgorithmE1EEyLj320ELj4ELj320ELj100EEvPKT0_PS4_,"axG",@progbits,_Z6kernelI9histogramILN6hipcub23BlockHistogramAlgorithmE1EEyLj320ELj4ELj320ELj100EEvPKT0_PS4_,comdat
	.protected	_Z6kernelI9histogramILN6hipcub23BlockHistogramAlgorithmE1EEyLj320ELj4ELj320ELj100EEvPKT0_PS4_ ; -- Begin function _Z6kernelI9histogramILN6hipcub23BlockHistogramAlgorithmE1EEyLj320ELj4ELj320ELj100EEvPKT0_PS4_
	.globl	_Z6kernelI9histogramILN6hipcub23BlockHistogramAlgorithmE1EEyLj320ELj4ELj320ELj100EEvPKT0_PS4_
	.p2align	8
	.type	_Z6kernelI9histogramILN6hipcub23BlockHistogramAlgorithmE1EEyLj320ELj4ELj320ELj100EEvPKT0_PS4_,@function
_Z6kernelI9histogramILN6hipcub23BlockHistogramAlgorithmE1EEyLj320ELj4ELj320ELj100EEvPKT0_PS4_: ; @_Z6kernelI9histogramILN6hipcub23BlockHistogramAlgorithmE1EEyLj320ELj4ELj320ELj100EEvPKT0_PS4_
; %bb.0:
	s_load_dwordx4 s[40:43], s[0:1], 0x0
	s_load_dword s8, s[0:1], 0x1c
	s_mulk_i32 s2, 0x140
	v_and_b32_e32 v14, 0x3ff, v0
	v_add_u32_e32 v10, s2, v14
	s_waitcnt lgkmcnt(0)
	v_mov_b32_e32 v2, s40
	v_mov_b32_e32 v3, s41
	v_lshlrev_b32_e32 v12, 2, v10
	v_mov_b32_e32 v13, 0
	v_lshl_add_u64 v[16:17], v[12:13], 3, v[2:3]
	global_load_dwordx4 v[2:5], v[16:17], off offset:16
	global_load_dwordx4 v[6:9], v[16:17], off
	v_mbcnt_lo_u32_b32 v1, -1, 0
	v_mbcnt_hi_u32_b32 v12, -1, v1
	v_lshrrev_b32_e32 v1, 2, v12
	v_and_b32_e32 v11, 3, v12
	v_and_b32_e32 v15, 64, v12
	v_cmp_eq_u32_e64 s[2:3], 3, v11
	v_cmp_eq_u32_e64 s[4:5], 2, v11
	;; [unrolled: 1-line block ×3, first 2 shown]
	v_or_b32_e32 v11, v1, v15
	v_add_u32_e32 v1, 48, v1
	v_and_or_b32 v1, v1, 63, v15
	v_lshlrev_b32_e32 v22, 2, v1
	s_lshr_b32 s9, s8, 16
	v_bfe_u32 v1, v0, 10, 10
	v_bfe_u32 v0, v0, 20, 10
	s_and_b32 s8, s8, 0xffff
	v_mad_u32_u24 v0, v0, s9, v1
	v_mad_u64_u32 v[0:1], s[8:9], v0, s8, v[14:15]
	v_lshrrev_b32_e32 v29, 6, v0
	v_and_b32_e32 v0, 15, v12
	v_cmp_eq_u32_e64 s[8:9], 0, v0
	v_cmp_lt_u32_e64 s[10:11], 1, v0
	v_cmp_lt_u32_e64 s[12:13], 3, v0
	;; [unrolled: 1-line block ×3, first 2 shown]
	v_and_b32_e32 v0, 16, v12
	v_cmp_eq_u32_e64 s[16:17], 0, v0
	v_and_b32_e32 v0, 0x1c0, v14
	v_min_u32_e32 v0, 0x100, v0
	v_or_b32_e32 v0, 63, v0
	v_cmp_eq_u32_e64 s[20:21], v0, v14
	v_add_u32_e32 v0, -1, v12
	v_cmp_lt_i32_e32 vcc, v0, v15
	v_lshlrev_b32_e32 v23, 2, v14
	s_movk_i32 s40, 0x700
	v_cndmask_b32_e32 v0, v0, v12, vcc
	v_lshlrev_b32_e32 v30, 2, v0
	v_lshrrev_b32_e32 v0, 4, v14
	v_and_b32_e32 v31, 28, v0
	v_and_b32_e32 v0, 7, v12
	v_cmp_eq_u32_e64 s[34:35], 0, v0
	v_cmp_lt_u32_e64 s[36:37], 1, v0
	v_cmp_lt_u32_e64 s[38:39], 3, v0
	v_and_or_b32 v0, v23, s40, v12
	v_lshrrev_b32_e32 v1, 5, v0
	v_add_lshl_u32 v35, v1, v0, 3
	v_add_u32_e32 v1, 64, v0
	v_lshrrev_b32_e32 v1, 5, v1
	v_add_lshl_u32 v36, v1, v0, 3
	v_or_b32_e32 v1, 0x80, v0
	v_lshrrev_b32_e32 v1, 5, v1
	v_add_lshl_u32 v37, v1, v0, 3
	v_add_u32_e32 v1, 0xc0, v0
	v_lshrrev_b32_e32 v1, 5, v1
	v_lshlrev_b32_e32 v24, 4, v14
	v_add_lshl_u32 v38, v1, v0, 3
	v_lshrrev_b32_e32 v0, 3, v14
	v_mad_i32_i24 v32, v14, -12, v24
	v_add_lshl_u32 v39, v0, v23, 3
	v_mov_b32_e32 v0, 0x2940
	s_movk_i32 s0, 0x140
	v_lshlrev_b32_e32 v11, 2, v11
	v_add_u32_e32 v40, v32, v23
	v_lshl_add_u32 v34, v14, 3, v0
	v_sub_u32_e32 v0, 0, v23
	v_cmp_gt_u32_e64 s[0:1], s0, v14
	s_mov_b32 s33, 0
	v_add_u32_e32 v20, 64, v11
	v_or_b32_e32 v21, 0x80, v11
	v_or_b32_e32 v25, 1, v23
	v_add_u32_e32 v26, 20, v24
	v_or_b32_e32 v27, 2, v23
	v_or_b32_e32 v28, 3, v23
	v_cmp_lt_u32_e64 s[18:19], 31, v12
	v_cmp_gt_u32_e64 s[22:23], 5, v14
	v_cmp_lt_u32_e64 s[24:25], 63, v14
	v_cmp_eq_u32_e64 s[26:27], 0, v12
	v_cmp_eq_u32_e64 s[28:29], 0, v14
	v_cmp_ne_u32_e64 s[30:31], 0, v14
	v_add_u32_e32 v33, -4, v31
	v_add_u32_e32 v41, -8, v40
	v_mov_b32_e32 v42, 0x500
	v_mov_b32_e32 v43, 5
	v_add_u32_e32 v44, v40, v0
	s_branch .LBB57_2
.LBB57_1:                               ;   in Loop: Header=BB57_2 Depth=1
	s_or_b64 exec, exec, s[40:41]
	s_add_i32 s33, s33, 1
	s_cmpk_lg_i32 s33, 0x64
	s_cbranch_scc0 .LBB57_37
.LBB57_2:                               ; =>This Loop Header: Depth=1
                                        ;     Child Loop BB57_6 Depth 2
	s_and_saveexec_b64 s[40:41], s[0:1]
	s_cbranch_execz .LBB57_4
; %bb.3:                                ;   in Loop: Header=BB57_2 Depth=1
	v_mov_b32_e32 v12, v13
	ds_write_b64 v34, v[12:13]
.LBB57_4:                               ;   in Loop: Header=BB57_2 Depth=1
	s_or_b64 exec, exec, s[40:41]
	s_waitcnt vmcnt(0)
	ds_bpermute_b32 v0, v11, v7
	ds_bpermute_b32 v1, v11, v9
	;; [unrolled: 1-line block ×6, first 2 shown]
	s_waitcnt lgkmcnt(4)
	v_cndmask_b32_e64 v0, v0, v1, s[6:7]
	ds_bpermute_b32 v1, v11, v2
	ds_bpermute_b32 v17, v11, v4
	s_waitcnt lgkmcnt(4)
	v_cndmask_b32_e64 v12, v12, v14, s[6:7]
	s_waitcnt lgkmcnt(3)
	v_cndmask_b32_e64 v0, v0, v15, s[4:5]
	;; [unrolled: 2-line block ×5, first 2 shown]
	ds_bpermute_b32 v0, v20, v7
	ds_bpermute_b32 v1, v20, v9
	;; [unrolled: 1-line block ×6, first 2 shown]
	s_waitcnt lgkmcnt(4)
	v_cndmask_b32_e64 v0, v0, v1, s[6:7]
	ds_bpermute_b32 v1, v20, v5
	s_waitcnt lgkmcnt(3)
	v_cndmask_b32_e64 v12, v12, v16, s[6:7]
	s_waitcnt lgkmcnt(2)
	v_cndmask_b32_e64 v0, v0, v18, s[4:5]
	;; [unrolled: 2-line block ×3, first 2 shown]
	ds_bpermute_b32 v16, v20, v4
	s_waitcnt lgkmcnt(1)
	v_cndmask_b32_e64 v17, v0, v1, s[2:3]
	ds_bpermute_b32 v0, v21, v7
	ds_bpermute_b32 v1, v21, v9
	;; [unrolled: 1-line block ×4, first 2 shown]
	s_waitcnt lgkmcnt(4)
	v_cndmask_b32_e64 v16, v12, v16, s[2:3]
	ds_bpermute_b32 v45, v21, v2
	s_waitcnt lgkmcnt(3)
	v_cndmask_b32_e64 v0, v0, v1, s[6:7]
	ds_bpermute_b32 v1, v21, v3
	;; [unrolled: 3-line block ×3, first 2 shown]
	ds_bpermute_b32 v2, v22, v2
	ds_bpermute_b32 v3, v22, v3
	s_waitcnt lgkmcnt(3)
	v_cndmask_b32_e64 v0, v0, v1, s[4:5]
	ds_bpermute_b32 v1, v22, v7
	ds_bpermute_b32 v7, v22, v9
	s_waitcnt lgkmcnt(4)
	v_cndmask_b32_e64 v19, v0, v18, s[2:3]
	ds_bpermute_b32 v0, v22, v6
	ds_bpermute_b32 v6, v22, v8
	v_cndmask_b32_e64 v12, v12, v45, s[4:5]
	ds_bpermute_b32 v45, v21, v4
	ds_bpermute_b32 v5, v22, v5
	;; [unrolled: 1-line block ×3, first 2 shown]
	s_waitcnt lgkmcnt(5)
	v_cndmask_b32_e64 v1, v1, v7, s[6:7]
	s_waitcnt lgkmcnt(3)
	v_cndmask_b32_e64 v0, v0, v6, s[6:7]
	v_cndmask_b32_e64 v0, v0, v2, s[4:5]
	;; [unrolled: 1-line block ×3, first 2 shown]
	s_waitcnt lgkmcnt(2)
	v_cndmask_b32_e64 v18, v12, v45, s[2:3]
	s_waitcnt lgkmcnt(1)
	v_cndmask_b32_e64 v9, v1, v5, s[2:3]
	;; [unrolled: 2-line block ×3, first 2 shown]
	s_mov_b64 s[44:45], 0
	s_barrier
	s_barrier
	s_branch .LBB57_6
.LBB57_5:                               ;   in Loop: Header=BB57_6 Depth=2
	v_lshrrev_b32_e32 v8, 2, v50
	v_and_b32_e32 v8, 0x3ffffff8, v8
	v_lshl_add_u32 v8, v50, 3, v8
	s_barrier
	ds_write_b64 v8, v[6:7]
	v_lshrrev_b32_e32 v8, 2, v47
	v_and_b32_e32 v8, 0x3ffffff8, v8
	v_lshl_add_u32 v8, v47, 3, v8
	ds_write_b64 v8, v[4:5]
	v_lshrrev_b32_e32 v8, 2, v45
	v_and_b32_e32 v8, 0x3ffffff8, v8
	v_lshl_add_u32 v8, v45, 3, v8
	;; [unrolled: 4-line block ×3, first 2 shown]
	ds_write_b64 v8, v[0:1]
	s_waitcnt lgkmcnt(0)
	s_barrier
	ds_read_b64 v[14:15], v35
	ds_read_b64 v[16:17], v36 offset:512
	ds_read_b64 v[18:19], v37 offset:1024
	;; [unrolled: 1-line block ×3, first 2 shown]
	s_add_u32 s44, s44, 8
	s_addc_u32 s45, s45, 0
	s_waitcnt lgkmcnt(0)
	s_barrier
	s_cbranch_execz .LBB57_22
.LBB57_6:                               ;   Parent Loop BB57_2 Depth=1
                                        ; =>  This Inner Loop Header: Depth=2
	v_mov_b64_e32 v[6:7], v[14:15]
	v_mov_b64_e32 v[0:1], v[8:9]
	v_lshrrev_b64 v[8:9], s44, v[6:7]
	v_and_b32_e32 v9, 0xff, v8
	v_and_b32_e32 v12, 1, v8
	v_mad_u32_u24 v9, v9, 5, v29
	v_lshl_add_u64 v[14:15], v[12:13], 0, -1
	v_cmp_ne_u32_e32 vcc, 0, v12
	v_mov_b64_e32 v[4:5], v[16:17]
	v_lshl_add_u32 v16, v9, 2, 20
	v_xor_b32_e32 v9, vcc_hi, v15
	v_xor_b32_e32 v12, vcc_lo, v14
	v_lshlrev_b32_e32 v15, 30, v8
	v_mov_b32_e32 v14, v13
	v_cmp_gt_i64_e32 vcc, 0, v[14:15]
	v_not_b32_e32 v14, v15
	v_ashrrev_i32_e32 v14, 31, v14
	v_and_b32_e32 v9, exec_hi, v9
	v_and_b32_e32 v12, exec_lo, v12
	v_xor_b32_e32 v15, vcc_hi, v14
	v_xor_b32_e32 v14, vcc_lo, v14
	v_and_b32_e32 v9, v9, v15
	v_and_b32_e32 v12, v12, v14
	v_lshlrev_b32_e32 v15, 29, v8
	v_mov_b32_e32 v14, v13
	v_cmp_gt_i64_e32 vcc, 0, v[14:15]
	v_not_b32_e32 v14, v15
	v_ashrrev_i32_e32 v14, 31, v14
	v_xor_b32_e32 v15, vcc_hi, v14
	v_xor_b32_e32 v14, vcc_lo, v14
	v_and_b32_e32 v9, v9, v15
	v_and_b32_e32 v12, v12, v14
	v_lshlrev_b32_e32 v15, 28, v8
	v_mov_b32_e32 v14, v13
	v_cmp_gt_i64_e32 vcc, 0, v[14:15]
	v_not_b32_e32 v14, v15
	v_ashrrev_i32_e32 v14, 31, v14
	;; [unrolled: 9-line block ×5, first 2 shown]
	v_xor_b32_e32 v15, vcc_hi, v14
	v_and_b32_e32 v15, v9, v15
	v_lshlrev_b32_e32 v9, 24, v8
	v_mov_b32_e32 v8, v13
	v_xor_b32_e32 v14, vcc_lo, v14
	v_cmp_gt_i64_e32 vcc, 0, v[8:9]
	v_not_b32_e32 v8, v9
	v_ashrrev_i32_e32 v8, 31, v8
	v_and_b32_e32 v12, v12, v14
	v_xor_b32_e32 v9, vcc_hi, v8
	v_xor_b32_e32 v8, vcc_lo, v8
	v_and_b32_e32 v8, v12, v8
	v_and_b32_e32 v9, v15, v9
	v_mbcnt_lo_u32_b32 v12, v8, 0
	v_mbcnt_hi_u32_b32 v17, v9, v12
	v_cmp_eq_u32_e32 vcc, 0, v17
	v_cmp_ne_u64_e64 s[40:41], 0, v[8:9]
	v_mov_b64_e32 v[2:3], v[18:19]
	s_and_b64 s[46:47], s[40:41], vcc
	ds_write2_b32 v24, v13, v13 offset0:5 offset1:6
	ds_write2_b32 v26, v13, v13 offset0:2 offset1:3
	s_waitcnt lgkmcnt(0)
	s_barrier
	s_waitcnt lgkmcnt(0)
	; wave barrier
	s_and_saveexec_b64 s[40:41], s[46:47]
	s_cbranch_execz .LBB57_8
; %bb.7:                                ;   in Loop: Header=BB57_6 Depth=2
	v_bcnt_u32_b32 v8, v8, 0
	v_bcnt_u32_b32 v8, v9, v8
	ds_write_b32 v16, v8
.LBB57_8:                               ;   in Loop: Header=BB57_6 Depth=2
	s_or_b64 exec, exec, s[40:41]
	v_lshrrev_b64 v[8:9], s44, v[4:5]
	v_mul_u32_u24_sdwa v9, v8, v43 dst_sel:DWORD dst_unused:UNUSED_PAD src0_sel:BYTE_0 src1_sel:DWORD
	v_and_b32_e32 v12, 1, v8
	v_add_lshl_u32 v9, v9, v29, 2
	v_lshl_add_u64 v[14:15], v[12:13], 0, -1
	v_cmp_ne_u32_e32 vcc, 0, v12
	; wave barrier
	v_add_u32_e32 v19, 20, v9
	ds_read_b32 v18, v9 offset:20
	v_xor_b32_e32 v9, vcc_hi, v15
	v_xor_b32_e32 v12, vcc_lo, v14
	v_lshlrev_b32_e32 v15, 30, v8
	v_mov_b32_e32 v14, v13
	v_cmp_gt_i64_e32 vcc, 0, v[14:15]
	v_not_b32_e32 v14, v15
	v_ashrrev_i32_e32 v14, 31, v14
	v_and_b32_e32 v9, exec_hi, v9
	v_and_b32_e32 v12, exec_lo, v12
	v_xor_b32_e32 v15, vcc_hi, v14
	v_xor_b32_e32 v14, vcc_lo, v14
	v_and_b32_e32 v9, v9, v15
	v_and_b32_e32 v12, v12, v14
	v_lshlrev_b32_e32 v15, 29, v8
	v_mov_b32_e32 v14, v13
	v_cmp_gt_i64_e32 vcc, 0, v[14:15]
	v_not_b32_e32 v14, v15
	v_ashrrev_i32_e32 v14, 31, v14
	v_xor_b32_e32 v15, vcc_hi, v14
	v_xor_b32_e32 v14, vcc_lo, v14
	v_and_b32_e32 v9, v9, v15
	v_and_b32_e32 v12, v12, v14
	v_lshlrev_b32_e32 v15, 28, v8
	v_mov_b32_e32 v14, v13
	v_cmp_gt_i64_e32 vcc, 0, v[14:15]
	v_not_b32_e32 v14, v15
	v_ashrrev_i32_e32 v14, 31, v14
	;; [unrolled: 9-line block ×5, first 2 shown]
	v_xor_b32_e32 v15, vcc_hi, v14
	v_and_b32_e32 v15, v9, v15
	v_lshlrev_b32_e32 v9, 24, v8
	v_mov_b32_e32 v8, v13
	v_xor_b32_e32 v14, vcc_lo, v14
	v_cmp_gt_i64_e32 vcc, 0, v[8:9]
	v_not_b32_e32 v8, v9
	v_ashrrev_i32_e32 v8, 31, v8
	v_and_b32_e32 v12, v12, v14
	v_xor_b32_e32 v9, vcc_hi, v8
	v_xor_b32_e32 v8, vcc_lo, v8
	v_and_b32_e32 v8, v12, v8
	v_and_b32_e32 v9, v15, v9
	v_mbcnt_lo_u32_b32 v12, v8, 0
	v_mbcnt_hi_u32_b32 v45, v9, v12
	v_cmp_eq_u32_e32 vcc, 0, v45
	v_cmp_ne_u64_e64 s[40:41], 0, v[8:9]
	s_and_b64 s[46:47], s[40:41], vcc
	; wave barrier
	s_and_saveexec_b64 s[40:41], s[46:47]
	s_cbranch_execz .LBB57_10
; %bb.9:                                ;   in Loop: Header=BB57_6 Depth=2
	v_bcnt_u32_b32 v8, v8, 0
	v_bcnt_u32_b32 v8, v9, v8
	s_waitcnt lgkmcnt(0)
	v_add_u32_e32 v8, v18, v8
	ds_write_b32 v19, v8
.LBB57_10:                              ;   in Loop: Header=BB57_6 Depth=2
	s_or_b64 exec, exec, s[40:41]
	v_lshrrev_b64 v[8:9], s44, v[2:3]
	v_mul_u32_u24_sdwa v9, v8, v43 dst_sel:DWORD dst_unused:UNUSED_PAD src0_sel:BYTE_0 src1_sel:DWORD
	v_and_b32_e32 v12, 1, v8
	v_add_lshl_u32 v9, v9, v29, 2
	v_lshl_add_u64 v[14:15], v[12:13], 0, -1
	v_cmp_ne_u32_e32 vcc, 0, v12
	; wave barrier
	v_add_u32_e32 v47, 20, v9
	ds_read_b32 v46, v9 offset:20
	v_xor_b32_e32 v9, vcc_hi, v15
	v_xor_b32_e32 v12, vcc_lo, v14
	v_lshlrev_b32_e32 v15, 30, v8
	v_mov_b32_e32 v14, v13
	v_cmp_gt_i64_e32 vcc, 0, v[14:15]
	v_not_b32_e32 v14, v15
	v_ashrrev_i32_e32 v14, 31, v14
	v_and_b32_e32 v9, exec_hi, v9
	v_and_b32_e32 v12, exec_lo, v12
	v_xor_b32_e32 v15, vcc_hi, v14
	v_xor_b32_e32 v14, vcc_lo, v14
	v_and_b32_e32 v9, v9, v15
	v_and_b32_e32 v12, v12, v14
	v_lshlrev_b32_e32 v15, 29, v8
	v_mov_b32_e32 v14, v13
	v_cmp_gt_i64_e32 vcc, 0, v[14:15]
	v_not_b32_e32 v14, v15
	v_ashrrev_i32_e32 v14, 31, v14
	v_xor_b32_e32 v15, vcc_hi, v14
	v_xor_b32_e32 v14, vcc_lo, v14
	v_and_b32_e32 v9, v9, v15
	v_and_b32_e32 v12, v12, v14
	v_lshlrev_b32_e32 v15, 28, v8
	v_mov_b32_e32 v14, v13
	v_cmp_gt_i64_e32 vcc, 0, v[14:15]
	v_not_b32_e32 v14, v15
	v_ashrrev_i32_e32 v14, 31, v14
	;; [unrolled: 9-line block ×5, first 2 shown]
	v_xor_b32_e32 v15, vcc_hi, v14
	v_and_b32_e32 v15, v9, v15
	v_lshlrev_b32_e32 v9, 24, v8
	v_mov_b32_e32 v8, v13
	v_xor_b32_e32 v14, vcc_lo, v14
	v_cmp_gt_i64_e32 vcc, 0, v[8:9]
	v_not_b32_e32 v8, v9
	v_ashrrev_i32_e32 v8, 31, v8
	v_and_b32_e32 v12, v12, v14
	v_xor_b32_e32 v9, vcc_hi, v8
	v_xor_b32_e32 v8, vcc_lo, v8
	v_and_b32_e32 v8, v12, v8
	v_and_b32_e32 v9, v15, v9
	v_mbcnt_lo_u32_b32 v12, v8, 0
	v_mbcnt_hi_u32_b32 v48, v9, v12
	v_cmp_eq_u32_e32 vcc, 0, v48
	v_cmp_ne_u64_e64 s[40:41], 0, v[8:9]
	s_and_b64 s[46:47], s[40:41], vcc
	; wave barrier
	s_and_saveexec_b64 s[40:41], s[46:47]
	s_cbranch_execz .LBB57_12
; %bb.11:                               ;   in Loop: Header=BB57_6 Depth=2
	v_bcnt_u32_b32 v8, v8, 0
	v_bcnt_u32_b32 v8, v9, v8
	s_waitcnt lgkmcnt(0)
	v_add_u32_e32 v8, v46, v8
	ds_write_b32 v47, v8
.LBB57_12:                              ;   in Loop: Header=BB57_6 Depth=2
	s_or_b64 exec, exec, s[40:41]
	v_lshrrev_b64 v[8:9], s44, v[0:1]
	v_mul_u32_u24_sdwa v9, v8, v43 dst_sel:DWORD dst_unused:UNUSED_PAD src0_sel:BYTE_0 src1_sel:DWORD
	v_and_b32_e32 v12, 1, v8
	v_add_lshl_u32 v9, v9, v29, 2
	v_lshl_add_u64 v[14:15], v[12:13], 0, -1
	v_cmp_ne_u32_e32 vcc, 0, v12
	; wave barrier
	v_add_u32_e32 v50, 20, v9
	ds_read_b32 v49, v9 offset:20
	v_xor_b32_e32 v9, vcc_hi, v15
	v_xor_b32_e32 v12, vcc_lo, v14
	v_lshlrev_b32_e32 v15, 30, v8
	v_mov_b32_e32 v14, v13
	v_cmp_gt_i64_e32 vcc, 0, v[14:15]
	v_not_b32_e32 v14, v15
	v_ashrrev_i32_e32 v14, 31, v14
	v_and_b32_e32 v9, exec_hi, v9
	v_and_b32_e32 v12, exec_lo, v12
	v_xor_b32_e32 v15, vcc_hi, v14
	v_xor_b32_e32 v14, vcc_lo, v14
	v_and_b32_e32 v9, v9, v15
	v_and_b32_e32 v12, v12, v14
	v_lshlrev_b32_e32 v15, 29, v8
	v_mov_b32_e32 v14, v13
	v_cmp_gt_i64_e32 vcc, 0, v[14:15]
	v_not_b32_e32 v14, v15
	v_ashrrev_i32_e32 v14, 31, v14
	v_xor_b32_e32 v15, vcc_hi, v14
	v_xor_b32_e32 v14, vcc_lo, v14
	v_and_b32_e32 v9, v9, v15
	v_and_b32_e32 v12, v12, v14
	v_lshlrev_b32_e32 v15, 28, v8
	v_mov_b32_e32 v14, v13
	v_cmp_gt_i64_e32 vcc, 0, v[14:15]
	v_not_b32_e32 v14, v15
	v_ashrrev_i32_e32 v14, 31, v14
	;; [unrolled: 9-line block ×5, first 2 shown]
	v_xor_b32_e32 v15, vcc_hi, v14
	v_and_b32_e32 v15, v9, v15
	v_lshlrev_b32_e32 v9, 24, v8
	v_mov_b32_e32 v8, v13
	v_xor_b32_e32 v14, vcc_lo, v14
	v_cmp_gt_i64_e32 vcc, 0, v[8:9]
	v_not_b32_e32 v8, v9
	v_ashrrev_i32_e32 v8, 31, v8
	v_and_b32_e32 v12, v12, v14
	v_xor_b32_e32 v9, vcc_hi, v8
	v_xor_b32_e32 v8, vcc_lo, v8
	v_and_b32_e32 v8, v12, v8
	v_and_b32_e32 v9, v15, v9
	v_mbcnt_lo_u32_b32 v12, v8, 0
	v_mbcnt_hi_u32_b32 v12, v9, v12
	v_cmp_eq_u32_e32 vcc, 0, v12
	v_cmp_ne_u64_e64 s[40:41], 0, v[8:9]
	s_and_b64 s[46:47], s[40:41], vcc
	; wave barrier
	s_and_saveexec_b64 s[40:41], s[46:47]
	s_cbranch_execz .LBB57_14
; %bb.13:                               ;   in Loop: Header=BB57_6 Depth=2
	v_bcnt_u32_b32 v8, v8, 0
	v_bcnt_u32_b32 v8, v9, v8
	s_waitcnt lgkmcnt(0)
	v_add_u32_e32 v8, v49, v8
	ds_write_b32 v50, v8
.LBB57_14:                              ;   in Loop: Header=BB57_6 Depth=2
	s_or_b64 exec, exec, s[40:41]
	; wave barrier
	s_waitcnt lgkmcnt(0)
	s_barrier
	ds_read2_b32 v[14:15], v24 offset0:5 offset1:6
	ds_read2_b32 v[8:9], v26 offset0:2 offset1:3
	s_waitcnt lgkmcnt(1)
	v_add_u32_e32 v51, v15, v14
	s_waitcnt lgkmcnt(0)
	v_add3_u32 v9, v51, v8, v9
	s_nop 1
	v_mov_b32_dpp v51, v9 row_shr:1 row_mask:0xf bank_mask:0xf
	v_cndmask_b32_e64 v51, v51, 0, s[8:9]
	v_add_u32_e32 v9, v51, v9
	s_nop 1
	v_mov_b32_dpp v51, v9 row_shr:2 row_mask:0xf bank_mask:0xf
	v_cndmask_b32_e64 v51, 0, v51, s[10:11]
	v_add_u32_e32 v9, v9, v51
	s_nop 1
	v_mov_b32_dpp v51, v9 row_shr:4 row_mask:0xf bank_mask:0xf
	v_cndmask_b32_e64 v51, 0, v51, s[12:13]
	v_add_u32_e32 v9, v9, v51
	s_nop 1
	v_mov_b32_dpp v51, v9 row_shr:8 row_mask:0xf bank_mask:0xf
	v_cndmask_b32_e64 v51, 0, v51, s[14:15]
	v_add_u32_e32 v9, v9, v51
	s_nop 1
	v_mov_b32_dpp v51, v9 row_bcast:15 row_mask:0xf bank_mask:0xf
	v_cndmask_b32_e64 v51, v51, 0, s[16:17]
	v_add_u32_e32 v9, v9, v51
	s_nop 1
	v_mov_b32_dpp v51, v9 row_bcast:31 row_mask:0xf bank_mask:0xf
	v_cndmask_b32_e64 v51, 0, v51, s[18:19]
	v_add_u32_e32 v9, v9, v51
	s_and_saveexec_b64 s[40:41], s[20:21]
	s_cbranch_execz .LBB57_16
; %bb.15:                               ;   in Loop: Header=BB57_6 Depth=2
	ds_write_b32 v31, v9
.LBB57_16:                              ;   in Loop: Header=BB57_6 Depth=2
	s_or_b64 exec, exec, s[40:41]
	s_waitcnt lgkmcnt(0)
	s_barrier
	s_and_saveexec_b64 s[40:41], s[22:23]
	s_cbranch_execz .LBB57_18
; %bb.17:                               ;   in Loop: Header=BB57_6 Depth=2
	ds_read_b32 v51, v32
	s_waitcnt lgkmcnt(0)
	s_nop 0
	v_mov_b32_dpp v52, v51 row_shr:1 row_mask:0xf bank_mask:0xf
	v_cndmask_b32_e64 v52, v52, 0, s[34:35]
	v_add_u32_e32 v51, v52, v51
	s_nop 1
	v_mov_b32_dpp v52, v51 row_shr:2 row_mask:0xf bank_mask:0xf
	v_cndmask_b32_e64 v52, 0, v52, s[36:37]
	v_add_u32_e32 v51, v51, v52
	;; [unrolled: 4-line block ×3, first 2 shown]
	ds_write_b32 v32, v51
.LBB57_18:                              ;   in Loop: Header=BB57_6 Depth=2
	s_or_b64 exec, exec, s[40:41]
	v_mov_b32_e32 v51, 0
	s_waitcnt lgkmcnt(0)
	s_barrier
	s_and_saveexec_b64 s[40:41], s[24:25]
	s_cbranch_execz .LBB57_20
; %bb.19:                               ;   in Loop: Header=BB57_6 Depth=2
	ds_read_b32 v51, v33
.LBB57_20:                              ;   in Loop: Header=BB57_6 Depth=2
	s_or_b64 exec, exec, s[40:41]
	s_waitcnt lgkmcnt(0)
	v_add_u32_e32 v9, v51, v9
	ds_bpermute_b32 v9, v30, v9
	s_cmp_gt_u32 s44, 55
	s_waitcnt lgkmcnt(0)
	v_cndmask_b32_e64 v9, v9, v51, s[26:27]
	v_cndmask_b32_e64 v9, v9, 0, s[28:29]
	v_add_u32_e32 v14, v9, v14
	v_add_u32_e32 v15, v14, v15
	;; [unrolled: 1-line block ×3, first 2 shown]
	ds_write2_b32 v24, v9, v14 offset0:5 offset1:6
	ds_write2_b32 v26, v15, v8 offset0:2 offset1:3
	s_waitcnt lgkmcnt(0)
	s_barrier
	ds_read_b32 v8, v16
	ds_read_b32 v9, v19
	;; [unrolled: 1-line block ×4, first 2 shown]
	s_waitcnt lgkmcnt(3)
	v_add_u32_e32 v50, v8, v17
	s_waitcnt lgkmcnt(2)
	v_add3_u32 v47, v45, v18, v9
	s_waitcnt lgkmcnt(1)
	v_add3_u32 v45, v48, v46, v14
	;; [unrolled: 2-line block ×3, first 2 shown]
	s_cbranch_scc0 .LBB57_5
; %bb.21:                               ;   in Loop: Header=BB57_2 Depth=1
                                        ; implicit-def: $vgpr14_vgpr15
                                        ; implicit-def: $vgpr16_vgpr17
                                        ; implicit-def: $vgpr18_vgpr19
                                        ; implicit-def: $vgpr8_vgpr9
                                        ; implicit-def: $sgpr44_sgpr45
.LBB57_22:                              ;   in Loop: Header=BB57_2 Depth=1
	v_lshrrev_b32_e32 v8, 2, v50
	v_and_b32_e32 v8, 0x3ffffff8, v8
	v_lshl_add_u32 v8, v50, 3, v8
	s_barrier
	ds_write_b64 v8, v[6:7]
	v_lshrrev_b32_e32 v6, 2, v47
	v_and_b32_e32 v6, 0x3ffffff8, v6
	v_lshl_add_u32 v6, v47, 3, v6
	ds_write_b64 v6, v[4:5]
	v_lshrrev_b32_e32 v4, 2, v45
	v_and_b32_e32 v4, 0x3ffffff8, v4
	v_lshl_add_u32 v4, v45, 3, v4
	;; [unrolled: 4-line block ×3, first 2 shown]
	ds_write_b64 v2, v[0:1]
	s_waitcnt lgkmcnt(0)
	s_barrier
	ds_read2_b64 v[6:9], v39 offset1:1
	ds_read2_b64 v[2:5], v39 offset0:2 offset1:3
	s_waitcnt lgkmcnt(0)
	s_barrier
	s_and_saveexec_b64 s[40:41], s[0:1]
	s_cbranch_execz .LBB57_24
; %bb.23:                               ;   in Loop: Header=BB57_2 Depth=1
	ds_write2st64_b32 v44, v42, v42 offset0:20 offset1:25
.LBB57_24:                              ;   in Loop: Header=BB57_2 Depth=1
	s_or_b64 exec, exec, s[40:41]
	v_cmp_ne_u32_e32 vcc, v2, v4
	v_lshlrev_b32_e32 v0, 2, v2
	s_waitcnt lgkmcnt(0)
	s_barrier
	ds_write_b64 v40, v[4:5]
	s_and_saveexec_b64 s[40:41], vcc
	s_cbranch_execz .LBB57_26
; %bb.25:                               ;   in Loop: Header=BB57_2 Depth=1
	v_lshlrev_b32_e32 v1, 2, v4
	ds_write_b32 v1, v28 offset:5120
	ds_write_b32 v0, v28 offset:6400
.LBB57_26:                              ;   in Loop: Header=BB57_2 Depth=1
	s_or_b64 exec, exec, s[40:41]
	v_cmp_ne_u32_e32 vcc, v2, v8
	v_lshlrev_b32_e32 v1, 2, v8
	v_mov_b32_e32 v12, v2
	s_and_saveexec_b64 s[40:41], vcc
	s_cbranch_execz .LBB57_28
; %bb.27:                               ;   in Loop: Header=BB57_2 Depth=1
	v_mov_b32_e32 v12, v8
	ds_write_b32 v0, v27 offset:5120
	ds_write_b32 v1, v27 offset:6400
.LBB57_28:                              ;   in Loop: Header=BB57_2 Depth=1
	s_or_b64 exec, exec, s[40:41]
	v_cmp_ne_u32_e32 vcc, v12, v6
	v_lshlrev_b32_e32 v0, 2, v6
	s_and_saveexec_b64 s[40:41], vcc
	s_cbranch_execz .LBB57_30
; %bb.29:                               ;   in Loop: Header=BB57_2 Depth=1
	ds_write_b32 v1, v25 offset:5120
	ds_write_b32 v0, v25 offset:6400
.LBB57_30:                              ;   in Loop: Header=BB57_2 Depth=1
	s_or_b64 exec, exec, s[40:41]
	s_waitcnt lgkmcnt(0)
	s_barrier
	s_and_saveexec_b64 s[40:41], s[30:31]
	s_cbranch_execz .LBB57_33
; %bb.31:                               ;   in Loop: Header=BB57_2 Depth=1
	ds_read_b32 v1, v41
	s_waitcnt lgkmcnt(0)
	v_cmp_ne_u32_e32 vcc, v1, v6
	s_and_b64 exec, exec, vcc
	s_cbranch_execz .LBB57_33
; %bb.32:                               ;   in Loop: Header=BB57_2 Depth=1
	ds_write_b32 v0, v23 offset:5120
	ds_read_b32 v1, v41
	s_waitcnt lgkmcnt(0)
	v_lshlrev_b32_e32 v1, 2, v1
	ds_write_b32 v1, v23 offset:6400
.LBB57_33:                              ;   in Loop: Header=BB57_2 Depth=1
	s_or_b64 exec, exec, s[40:41]
	s_waitcnt lgkmcnt(0)
	s_barrier
	s_and_saveexec_b64 s[40:41], s[28:29]
	s_cbranch_execz .LBB57_35
; %bb.34:                               ;   in Loop: Header=BB57_2 Depth=1
	ds_write_b32 v0, v13 offset:5120
.LBB57_35:                              ;   in Loop: Header=BB57_2 Depth=1
	s_or_b64 exec, exec, s[40:41]
	s_waitcnt lgkmcnt(0)
	s_barrier
	s_and_saveexec_b64 s[40:41], s[0:1]
	s_cbranch_execz .LBB57_1
; %bb.36:                               ;   in Loop: Header=BB57_2 Depth=1
	ds_read2st64_b32 v[0:1], v44 offset0:20 offset1:25
	ds_read_b64 v[14:15], v34
	s_waitcnt lgkmcnt(1)
	v_sub_u32_e32 v12, v1, v0
	s_waitcnt lgkmcnt(0)
	v_lshl_add_u64 v[0:1], v[14:15], 0, v[12:13]
	ds_write_b64 v34, v[0:1]
	s_branch .LBB57_1
.LBB57_37:
	s_and_saveexec_b64 s[2:3], s[0:1]
	s_cbranch_execz .LBB57_39
; %bb.38:
	ds_read_b64 v[0:1], v34
	v_mov_b32_e32 v2, s42
	v_mov_b32_e32 v3, s43
	;; [unrolled: 1-line block ×3, first 2 shown]
	v_lshl_add_u64 v[2:3], v[10:11], 3, v[2:3]
	s_waitcnt lgkmcnt(0)
	global_store_dwordx2 v[2:3], v[0:1], off
.LBB57_39:
	s_endpgm
	.section	.rodata,"a",@progbits
	.p2align	6, 0x0
	.amdhsa_kernel _Z6kernelI9histogramILN6hipcub23BlockHistogramAlgorithmE1EEyLj320ELj4ELj320ELj100EEvPKT0_PS4_
		.amdhsa_group_segment_fixed_size 13120
		.amdhsa_private_segment_fixed_size 0
		.amdhsa_kernarg_size 272
		.amdhsa_user_sgpr_count 2
		.amdhsa_user_sgpr_dispatch_ptr 0
		.amdhsa_user_sgpr_queue_ptr 0
		.amdhsa_user_sgpr_kernarg_segment_ptr 1
		.amdhsa_user_sgpr_dispatch_id 0
		.amdhsa_user_sgpr_kernarg_preload_length 0
		.amdhsa_user_sgpr_kernarg_preload_offset 0
		.amdhsa_user_sgpr_private_segment_size 0
		.amdhsa_uses_dynamic_stack 0
		.amdhsa_enable_private_segment 0
		.amdhsa_system_sgpr_workgroup_id_x 1
		.amdhsa_system_sgpr_workgroup_id_y 0
		.amdhsa_system_sgpr_workgroup_id_z 0
		.amdhsa_system_sgpr_workgroup_info 0
		.amdhsa_system_vgpr_workitem_id 2
		.amdhsa_next_free_vgpr 53
		.amdhsa_next_free_sgpr 48
		.amdhsa_accum_offset 56
		.amdhsa_reserve_vcc 1
		.amdhsa_float_round_mode_32 0
		.amdhsa_float_round_mode_16_64 0
		.amdhsa_float_denorm_mode_32 3
		.amdhsa_float_denorm_mode_16_64 3
		.amdhsa_dx10_clamp 1
		.amdhsa_ieee_mode 1
		.amdhsa_fp16_overflow 0
		.amdhsa_tg_split 0
		.amdhsa_exception_fp_ieee_invalid_op 0
		.amdhsa_exception_fp_denorm_src 0
		.amdhsa_exception_fp_ieee_div_zero 0
		.amdhsa_exception_fp_ieee_overflow 0
		.amdhsa_exception_fp_ieee_underflow 0
		.amdhsa_exception_fp_ieee_inexact 0
		.amdhsa_exception_int_div_zero 0
	.end_amdhsa_kernel
	.section	.text._Z6kernelI9histogramILN6hipcub23BlockHistogramAlgorithmE1EEyLj320ELj4ELj320ELj100EEvPKT0_PS4_,"axG",@progbits,_Z6kernelI9histogramILN6hipcub23BlockHistogramAlgorithmE1EEyLj320ELj4ELj320ELj100EEvPKT0_PS4_,comdat
.Lfunc_end57:
	.size	_Z6kernelI9histogramILN6hipcub23BlockHistogramAlgorithmE1EEyLj320ELj4ELj320ELj100EEvPKT0_PS4_, .Lfunc_end57-_Z6kernelI9histogramILN6hipcub23BlockHistogramAlgorithmE1EEyLj320ELj4ELj320ELj100EEvPKT0_PS4_
                                        ; -- End function
	.section	.AMDGPU.csdata,"",@progbits
; Kernel info:
; codeLenInByte = 3996
; NumSgprs: 54
; NumVgprs: 53
; NumAgprs: 0
; TotalNumVgprs: 53
; ScratchSize: 0
; MemoryBound: 0
; FloatMode: 240
; IeeeMode: 1
; LDSByteSize: 13120 bytes/workgroup (compile time only)
; SGPRBlocks: 6
; VGPRBlocks: 6
; NumSGPRsForWavesPerEU: 54
; NumVGPRsForWavesPerEU: 53
; AccumOffset: 56
; Occupancy: 5
; WaveLimiterHint : 0
; COMPUTE_PGM_RSRC2:SCRATCH_EN: 0
; COMPUTE_PGM_RSRC2:USER_SGPR: 2
; COMPUTE_PGM_RSRC2:TRAP_HANDLER: 0
; COMPUTE_PGM_RSRC2:TGID_X_EN: 1
; COMPUTE_PGM_RSRC2:TGID_Y_EN: 0
; COMPUTE_PGM_RSRC2:TGID_Z_EN: 0
; COMPUTE_PGM_RSRC2:TIDIG_COMP_CNT: 2
; COMPUTE_PGM_RSRC3_GFX90A:ACCUM_OFFSET: 13
; COMPUTE_PGM_RSRC3_GFX90A:TG_SPLIT: 0
	.section	.text._Z6kernelI9histogramILN6hipcub23BlockHistogramAlgorithmE1EEyLj320ELj8ELj320ELj100EEvPKT0_PS4_,"axG",@progbits,_Z6kernelI9histogramILN6hipcub23BlockHistogramAlgorithmE1EEyLj320ELj8ELj320ELj100EEvPKT0_PS4_,comdat
	.protected	_Z6kernelI9histogramILN6hipcub23BlockHistogramAlgorithmE1EEyLj320ELj8ELj320ELj100EEvPKT0_PS4_ ; -- Begin function _Z6kernelI9histogramILN6hipcub23BlockHistogramAlgorithmE1EEyLj320ELj8ELj320ELj100EEvPKT0_PS4_
	.globl	_Z6kernelI9histogramILN6hipcub23BlockHistogramAlgorithmE1EEyLj320ELj8ELj320ELj100EEvPKT0_PS4_
	.p2align	8
	.type	_Z6kernelI9histogramILN6hipcub23BlockHistogramAlgorithmE1EEyLj320ELj8ELj320ELj100EEvPKT0_PS4_,@function
_Z6kernelI9histogramILN6hipcub23BlockHistogramAlgorithmE1EEyLj320ELj8ELj320ELj100EEvPKT0_PS4_: ; @_Z6kernelI9histogramILN6hipcub23BlockHistogramAlgorithmE1EEyLj320ELj8ELj320ELj100EEvPKT0_PS4_
; %bb.0:
	s_load_dwordx4 s[36:39], s[0:1], 0x0
	s_load_dword s3, s[0:1], 0x1c
	s_mulk_i32 s2, 0x140
	v_and_b32_e32 v22, 0x3ff, v0
	v_add_u32_e32 v18, s2, v22
	s_waitcnt lgkmcnt(0)
	v_mov_b32_e32 v2, s36
	v_mov_b32_e32 v3, s37
	v_lshlrev_b32_e32 v20, 3, v18
	v_mov_b32_e32 v21, 0
	v_lshl_add_u64 v[24:25], v[20:21], 3, v[2:3]
	global_load_dwordx4 v[2:5], v[24:25], off offset:48
	global_load_dwordx4 v[6:9], v[24:25], off offset:32
	;; [unrolled: 1-line block ×3, first 2 shown]
	global_load_dwordx4 v[14:17], v[24:25], off
	v_mbcnt_lo_u32_b32 v1, -1, 0
	v_mbcnt_hi_u32_b32 v20, -1, v1
	v_and_b32_e32 v23, 0x1c0, v22
	v_add_u32_e32 v1, v20, v23
	v_lshlrev_b32_e32 v24, 1, v1
	v_lshlrev_b32_e32 v19, 3, v22
	v_and_b32_e32 v24, 0x7f8, v24
	s_movk_i32 s2, 0xe00
	v_lshl_add_u32 v36, v1, 6, v24
	v_and_or_b32 v1, v19, s2, v20
	v_lshrrev_b32_e32 v24, 5, v1
	v_add_lshl_u32 v37, v24, v1, 3
	v_add_u32_e32 v24, 64, v1
	v_lshrrev_b32_e32 v24, 5, v24
	v_add_lshl_u32 v38, v24, v1, 3
	v_or_b32_e32 v24, 0x80, v1
	v_lshrrev_b32_e32 v24, 5, v24
	v_add_lshl_u32 v39, v24, v1, 3
	v_add_u32_e32 v24, 0xc0, v1
	v_lshrrev_b32_e32 v24, 5, v24
	v_add_lshl_u32 v40, v24, v1, 3
	v_or_b32_e32 v24, 0x100, v1
	;; [unrolled: 6-line block ×3, first 2 shown]
	v_lshrrev_b32_e32 v24, 5, v24
	v_add_lshl_u32 v43, v24, v1, 3
	v_add_u32_e32 v24, 0x1c0, v1
	v_lshrrev_b32_e32 v24, 5, v24
	v_add_lshl_u32 v44, v24, v1, 3
	s_lshr_b32 s2, s3, 16
	v_bfe_u32 v1, v0, 10, 10
	v_bfe_u32 v0, v0, 20, 10
	s_and_b32 s3, s3, 0xffff
	v_mad_u32_u24 v0, v0, s2, v1
	v_mad_u64_u32 v[0:1], s[2:3], v0, s3, v[22:23]
	v_lshrrev_b32_e32 v47, 6, v0
	v_and_b32_e32 v0, 15, v20
	v_cmp_eq_u32_e64 s[2:3], 0, v0
	v_cmp_lt_u32_e64 s[4:5], 1, v0
	v_cmp_lt_u32_e64 s[6:7], 3, v0
	;; [unrolled: 1-line block ×3, first 2 shown]
	v_and_b32_e32 v0, 16, v20
	v_cmp_eq_u32_e64 s[10:11], 0, v0
	v_min_u32_e32 v0, 0x100, v23
	v_or_b32_e32 v0, 63, v0
	v_cmp_eq_u32_e64 s[14:15], v0, v22
	v_add_u32_e32 v0, -1, v20
	v_and_b32_e32 v23, 64, v20
	v_cmp_lt_i32_e32 vcc, v0, v23
	v_lshlrev_b32_e32 v45, 4, v22
	v_lshlrev_b32_e32 v1, 2, v22
	v_cndmask_b32_e32 v0, v0, v20, vcc
	v_lshlrev_b32_e32 v49, 2, v0
	v_lshrrev_b32_e32 v0, 4, v22
	v_and_b32_e32 v50, 28, v0
	v_and_b32_e32 v0, 7, v20
	v_mad_i32_i24 v51, v22, -12, v45
	v_cmp_eq_u32_e64 s[26:27], 0, v0
	v_cmp_lt_u32_e64 s[28:29], 1, v0
	v_cmp_lt_u32_e64 s[30:31], 3, v0
	v_lshrrev_b32_e32 v0, 2, v22
	s_movk_i32 s0, 0x140
	v_add_lshl_u32 v53, v0, v19, 3
	v_add_u32_e32 v54, v51, v1
	v_sub_u32_e32 v0, 0, v1
	v_cmp_gt_u32_e64 s[0:1], s0, v22
	s_mov_b32 s33, 0
	v_add_u32_e32 v46, 20, v45
	v_cmp_lt_u32_e64 s[12:13], 31, v20
	v_cmp_gt_u32_e64 s[16:17], 5, v22
	v_cmp_lt_u32_e64 s[18:19], 63, v22
	v_cmp_eq_u32_e64 s[20:21], 0, v20
	v_cmp_eq_u32_e64 s[22:23], 0, v22
	v_cmp_ne_u32_e64 s[24:25], 0, v22
	v_add_u32_e32 v52, -4, v50
	v_add_u32_e32 v48, 0x5280, v19
	v_or_b32_e32 v55, 7, v19
	v_or_b32_e32 v56, 6, v19
	;; [unrolled: 1-line block ×7, first 2 shown]
	v_add_u32_e32 v62, -8, v54
	v_mov_b32_e32 v63, 0xa00
	v_mov_b32_e32 v64, 5
	v_add_u32_e32 v65, v54, v0
	s_branch .LBB58_2
.LBB58_1:                               ;   in Loop: Header=BB58_2 Depth=1
	s_or_b64 exec, exec, s[34:35]
	s_add_i32 s33, s33, 1
	s_cmpk_lg_i32 s33, 0x64
	s_cbranch_scc0 .LBB58_53
.LBB58_2:                               ; =>This Loop Header: Depth=1
                                        ;     Child Loop BB58_6 Depth 2
	s_and_saveexec_b64 s[34:35], s[0:1]
	s_cbranch_execz .LBB58_4
; %bb.3:                                ;   in Loop: Header=BB58_2 Depth=1
	v_mov_b32_e32 v20, v21
	ds_write_b64 v48, v[20:21]
.LBB58_4:                               ;   in Loop: Header=BB58_2 Depth=1
	s_or_b64 exec, exec, s[34:35]
	s_waitcnt lgkmcnt(0)
	s_barrier
	s_waitcnt vmcnt(0)
	ds_write2_b64 v36, v[14:15], v[16:17] offset1:1
	ds_write2_b64 v36, v[10:11], v[12:13] offset0:2 offset1:3
	ds_write2_b64 v36, v[6:7], v[8:9] offset0:4 offset1:5
	;; [unrolled: 1-line block ×3, first 2 shown]
	; wave barrier
	ds_read_b64 v[16:17], v37
	ds_read_b64 v[22:23], v38 offset:512
	ds_read_b64 v[24:25], v39 offset:1024
	;; [unrolled: 1-line block ×7, first 2 shown]
	s_mov_b64 s[36:37], 0
	s_waitcnt lgkmcnt(0)
	s_barrier
	s_waitcnt lgkmcnt(0)
	; wave barrier
	s_barrier
	s_branch .LBB58_6
.LBB58_5:                               ;   in Loop: Header=BB58_6 Depth=2
	v_lshrrev_b32_e32 v16, 2, v77
	v_and_b32_e32 v16, 0x3ffffff8, v16
	v_lshl_add_u32 v16, v77, 3, v16
	s_barrier
	ds_write_b64 v16, v[14:15]
	v_lshrrev_b32_e32 v16, 2, v76
	v_and_b32_e32 v16, 0x3ffffff8, v16
	v_lshl_add_u32 v16, v76, 3, v16
	ds_write_b64 v16, v[12:13]
	v_lshrrev_b32_e32 v16, 2, v75
	v_and_b32_e32 v16, 0x3ffffff8, v16
	v_lshl_add_u32 v16, v75, 3, v16
	;; [unrolled: 4-line block ×7, first 2 shown]
	ds_write_b64 v16, v[0:1]
	s_waitcnt lgkmcnt(0)
	s_barrier
	ds_read_b64 v[16:17], v37
	ds_read_b64 v[22:23], v38 offset:512
	ds_read_b64 v[24:25], v39 offset:1024
	;; [unrolled: 1-line block ×7, first 2 shown]
	s_add_u32 s36, s36, 8
	s_addc_u32 s37, s37, 0
	s_waitcnt lgkmcnt(0)
	s_barrier
	s_cbranch_execz .LBB58_30
.LBB58_6:                               ;   Parent Loop BB58_2 Depth=1
                                        ; =>  This Inner Loop Header: Depth=2
	v_mov_b64_e32 v[14:15], v[16:17]
	v_lshrrev_b64 v[16:17], s36, v[14:15]
	v_and_b32_e32 v17, 0xff, v16
	v_and_b32_e32 v20, 1, v16
	v_mov_b64_e32 v[12:13], v[22:23]
	v_mad_u32_u24 v17, v17, 5, v47
	v_lshl_add_u64 v[22:23], v[20:21], 0, -1
	v_cmp_ne_u32_e32 vcc, 0, v20
	v_mov_b64_e32 v[10:11], v[24:25]
	v_lshl_add_u32 v24, v17, 2, 20
	v_xor_b32_e32 v17, vcc_hi, v23
	v_xor_b32_e32 v20, vcc_lo, v22
	v_lshlrev_b32_e32 v23, 30, v16
	v_mov_b32_e32 v22, v21
	v_cmp_gt_i64_e32 vcc, 0, v[22:23]
	v_not_b32_e32 v22, v23
	v_ashrrev_i32_e32 v22, 31, v22
	v_and_b32_e32 v17, exec_hi, v17
	v_and_b32_e32 v20, exec_lo, v20
	v_xor_b32_e32 v23, vcc_hi, v22
	v_xor_b32_e32 v22, vcc_lo, v22
	v_and_b32_e32 v17, v17, v23
	v_and_b32_e32 v20, v20, v22
	v_lshlrev_b32_e32 v23, 29, v16
	v_mov_b32_e32 v22, v21
	v_cmp_gt_i64_e32 vcc, 0, v[22:23]
	v_not_b32_e32 v22, v23
	v_ashrrev_i32_e32 v22, 31, v22
	v_xor_b32_e32 v23, vcc_hi, v22
	v_xor_b32_e32 v22, vcc_lo, v22
	v_and_b32_e32 v17, v17, v23
	v_and_b32_e32 v20, v20, v22
	v_lshlrev_b32_e32 v23, 28, v16
	v_mov_b32_e32 v22, v21
	v_cmp_gt_i64_e32 vcc, 0, v[22:23]
	v_not_b32_e32 v22, v23
	v_ashrrev_i32_e32 v22, 31, v22
	;; [unrolled: 9-line block ×5, first 2 shown]
	v_xor_b32_e32 v23, vcc_hi, v22
	v_and_b32_e32 v23, v17, v23
	v_lshlrev_b32_e32 v17, 24, v16
	v_mov_b32_e32 v16, v21
	v_xor_b32_e32 v22, vcc_lo, v22
	v_cmp_gt_i64_e32 vcc, 0, v[16:17]
	v_not_b32_e32 v16, v17
	v_ashrrev_i32_e32 v16, 31, v16
	v_and_b32_e32 v20, v20, v22
	v_xor_b32_e32 v17, vcc_hi, v16
	v_xor_b32_e32 v16, vcc_lo, v16
	v_and_b32_e32 v16, v20, v16
	v_and_b32_e32 v17, v23, v17
	v_mbcnt_lo_u32_b32 v20, v16, 0
	v_mbcnt_hi_u32_b32 v25, v17, v20
	v_cmp_eq_u32_e32 vcc, 0, v25
	v_cmp_ne_u64_e64 s[34:35], 0, v[16:17]
	v_mov_b64_e32 v[8:9], v[26:27]
	v_mov_b64_e32 v[6:7], v[28:29]
	v_mov_b64_e32 v[4:5], v[30:31]
	v_mov_b64_e32 v[2:3], v[32:33]
	v_mov_b64_e32 v[0:1], v[34:35]
	s_and_b64 s[40:41], s[34:35], vcc
	ds_write2_b32 v45, v21, v21 offset0:5 offset1:6
	ds_write2_b32 v46, v21, v21 offset0:2 offset1:3
	s_waitcnt lgkmcnt(0)
	s_barrier
	s_waitcnt lgkmcnt(0)
	; wave barrier
	s_and_saveexec_b64 s[34:35], s[40:41]
	s_cbranch_execz .LBB58_8
; %bb.7:                                ;   in Loop: Header=BB58_6 Depth=2
	v_bcnt_u32_b32 v16, v16, 0
	v_bcnt_u32_b32 v16, v17, v16
	ds_write_b32 v24, v16
.LBB58_8:                               ;   in Loop: Header=BB58_6 Depth=2
	s_or_b64 exec, exec, s[34:35]
	v_lshrrev_b64 v[16:17], s36, v[12:13]
	v_mul_u32_u24_sdwa v17, v16, v64 dst_sel:DWORD dst_unused:UNUSED_PAD src0_sel:BYTE_0 src1_sel:DWORD
	v_and_b32_e32 v20, 1, v16
	v_add_lshl_u32 v17, v17, v47, 2
	v_lshl_add_u64 v[22:23], v[20:21], 0, -1
	v_cmp_ne_u32_e32 vcc, 0, v20
	; wave barrier
	v_add_u32_e32 v27, 20, v17
	ds_read_b32 v26, v17 offset:20
	v_xor_b32_e32 v17, vcc_hi, v23
	v_xor_b32_e32 v20, vcc_lo, v22
	v_lshlrev_b32_e32 v23, 30, v16
	v_mov_b32_e32 v22, v21
	v_cmp_gt_i64_e32 vcc, 0, v[22:23]
	v_not_b32_e32 v22, v23
	v_ashrrev_i32_e32 v22, 31, v22
	v_and_b32_e32 v17, exec_hi, v17
	v_and_b32_e32 v20, exec_lo, v20
	v_xor_b32_e32 v23, vcc_hi, v22
	v_xor_b32_e32 v22, vcc_lo, v22
	v_and_b32_e32 v17, v17, v23
	v_and_b32_e32 v20, v20, v22
	v_lshlrev_b32_e32 v23, 29, v16
	v_mov_b32_e32 v22, v21
	v_cmp_gt_i64_e32 vcc, 0, v[22:23]
	v_not_b32_e32 v22, v23
	v_ashrrev_i32_e32 v22, 31, v22
	v_xor_b32_e32 v23, vcc_hi, v22
	v_xor_b32_e32 v22, vcc_lo, v22
	v_and_b32_e32 v17, v17, v23
	v_and_b32_e32 v20, v20, v22
	v_lshlrev_b32_e32 v23, 28, v16
	v_mov_b32_e32 v22, v21
	v_cmp_gt_i64_e32 vcc, 0, v[22:23]
	v_not_b32_e32 v22, v23
	v_ashrrev_i32_e32 v22, 31, v22
	;; [unrolled: 9-line block ×5, first 2 shown]
	v_xor_b32_e32 v23, vcc_hi, v22
	v_and_b32_e32 v23, v17, v23
	v_lshlrev_b32_e32 v17, 24, v16
	v_mov_b32_e32 v16, v21
	v_xor_b32_e32 v22, vcc_lo, v22
	v_cmp_gt_i64_e32 vcc, 0, v[16:17]
	v_not_b32_e32 v16, v17
	v_ashrrev_i32_e32 v16, 31, v16
	v_and_b32_e32 v20, v20, v22
	v_xor_b32_e32 v17, vcc_hi, v16
	v_xor_b32_e32 v16, vcc_lo, v16
	v_and_b32_e32 v16, v20, v16
	v_and_b32_e32 v17, v23, v17
	v_mbcnt_lo_u32_b32 v20, v16, 0
	v_mbcnt_hi_u32_b32 v28, v17, v20
	v_cmp_eq_u32_e32 vcc, 0, v28
	v_cmp_ne_u64_e64 s[34:35], 0, v[16:17]
	s_and_b64 s[40:41], s[34:35], vcc
	; wave barrier
	s_and_saveexec_b64 s[34:35], s[40:41]
	s_cbranch_execz .LBB58_10
; %bb.9:                                ;   in Loop: Header=BB58_6 Depth=2
	v_bcnt_u32_b32 v16, v16, 0
	v_bcnt_u32_b32 v16, v17, v16
	s_waitcnt lgkmcnt(0)
	v_add_u32_e32 v16, v26, v16
	ds_write_b32 v27, v16
.LBB58_10:                              ;   in Loop: Header=BB58_6 Depth=2
	s_or_b64 exec, exec, s[34:35]
	v_lshrrev_b64 v[16:17], s36, v[10:11]
	v_mul_u32_u24_sdwa v17, v16, v64 dst_sel:DWORD dst_unused:UNUSED_PAD src0_sel:BYTE_0 src1_sel:DWORD
	v_and_b32_e32 v20, 1, v16
	v_add_lshl_u32 v17, v17, v47, 2
	v_lshl_add_u64 v[22:23], v[20:21], 0, -1
	v_cmp_ne_u32_e32 vcc, 0, v20
	; wave barrier
	v_add_u32_e32 v30, 20, v17
	ds_read_b32 v29, v17 offset:20
	v_xor_b32_e32 v17, vcc_hi, v23
	v_xor_b32_e32 v20, vcc_lo, v22
	v_lshlrev_b32_e32 v23, 30, v16
	v_mov_b32_e32 v22, v21
	v_cmp_gt_i64_e32 vcc, 0, v[22:23]
	v_not_b32_e32 v22, v23
	v_ashrrev_i32_e32 v22, 31, v22
	v_and_b32_e32 v17, exec_hi, v17
	v_and_b32_e32 v20, exec_lo, v20
	v_xor_b32_e32 v23, vcc_hi, v22
	v_xor_b32_e32 v22, vcc_lo, v22
	v_and_b32_e32 v17, v17, v23
	v_and_b32_e32 v20, v20, v22
	v_lshlrev_b32_e32 v23, 29, v16
	v_mov_b32_e32 v22, v21
	v_cmp_gt_i64_e32 vcc, 0, v[22:23]
	v_not_b32_e32 v22, v23
	v_ashrrev_i32_e32 v22, 31, v22
	v_xor_b32_e32 v23, vcc_hi, v22
	v_xor_b32_e32 v22, vcc_lo, v22
	v_and_b32_e32 v17, v17, v23
	v_and_b32_e32 v20, v20, v22
	v_lshlrev_b32_e32 v23, 28, v16
	v_mov_b32_e32 v22, v21
	v_cmp_gt_i64_e32 vcc, 0, v[22:23]
	v_not_b32_e32 v22, v23
	v_ashrrev_i32_e32 v22, 31, v22
	v_xor_b32_e32 v23, vcc_hi, v22
	v_xor_b32_e32 v22, vcc_lo, v22
	v_and_b32_e32 v17, v17, v23
	v_and_b32_e32 v20, v20, v22
	v_lshlrev_b32_e32 v23, 27, v16
	v_mov_b32_e32 v22, v21
	v_cmp_gt_i64_e32 vcc, 0, v[22:23]
	v_not_b32_e32 v22, v23
	v_ashrrev_i32_e32 v22, 31, v22
	v_xor_b32_e32 v23, vcc_hi, v22
	v_xor_b32_e32 v22, vcc_lo, v22
	v_and_b32_e32 v17, v17, v23
	v_and_b32_e32 v20, v20, v22
	v_lshlrev_b32_e32 v23, 26, v16
	v_mov_b32_e32 v22, v21
	v_cmp_gt_i64_e32 vcc, 0, v[22:23]
	v_not_b32_e32 v22, v23
	v_ashrrev_i32_e32 v22, 31, v22
	v_xor_b32_e32 v23, vcc_hi, v22
	v_xor_b32_e32 v22, vcc_lo, v22
	v_and_b32_e32 v17, v17, v23
	v_and_b32_e32 v20, v20, v22
	v_lshlrev_b32_e32 v23, 25, v16
	v_mov_b32_e32 v22, v21
	v_cmp_gt_i64_e32 vcc, 0, v[22:23]
	v_not_b32_e32 v22, v23
	v_ashrrev_i32_e32 v22, 31, v22
	v_xor_b32_e32 v23, vcc_hi, v22
	v_and_b32_e32 v23, v17, v23
	v_lshlrev_b32_e32 v17, 24, v16
	v_mov_b32_e32 v16, v21
	v_xor_b32_e32 v22, vcc_lo, v22
	v_cmp_gt_i64_e32 vcc, 0, v[16:17]
	v_not_b32_e32 v16, v17
	v_ashrrev_i32_e32 v16, 31, v16
	v_and_b32_e32 v20, v20, v22
	v_xor_b32_e32 v17, vcc_hi, v16
	v_xor_b32_e32 v16, vcc_lo, v16
	v_and_b32_e32 v16, v20, v16
	v_and_b32_e32 v17, v23, v17
	v_mbcnt_lo_u32_b32 v20, v16, 0
	v_mbcnt_hi_u32_b32 v31, v17, v20
	v_cmp_eq_u32_e32 vcc, 0, v31
	v_cmp_ne_u64_e64 s[34:35], 0, v[16:17]
	s_and_b64 s[40:41], s[34:35], vcc
	; wave barrier
	s_and_saveexec_b64 s[34:35], s[40:41]
	s_cbranch_execz .LBB58_12
; %bb.11:                               ;   in Loop: Header=BB58_6 Depth=2
	v_bcnt_u32_b32 v16, v16, 0
	v_bcnt_u32_b32 v16, v17, v16
	s_waitcnt lgkmcnt(0)
	v_add_u32_e32 v16, v29, v16
	ds_write_b32 v30, v16
.LBB58_12:                              ;   in Loop: Header=BB58_6 Depth=2
	s_or_b64 exec, exec, s[34:35]
	v_lshrrev_b64 v[16:17], s36, v[8:9]
	v_mul_u32_u24_sdwa v17, v16, v64 dst_sel:DWORD dst_unused:UNUSED_PAD src0_sel:BYTE_0 src1_sel:DWORD
	v_and_b32_e32 v20, 1, v16
	v_add_lshl_u32 v17, v17, v47, 2
	v_lshl_add_u64 v[22:23], v[20:21], 0, -1
	v_cmp_ne_u32_e32 vcc, 0, v20
	; wave barrier
	v_add_u32_e32 v33, 20, v17
	ds_read_b32 v32, v17 offset:20
	v_xor_b32_e32 v17, vcc_hi, v23
	v_xor_b32_e32 v20, vcc_lo, v22
	v_lshlrev_b32_e32 v23, 30, v16
	v_mov_b32_e32 v22, v21
	v_cmp_gt_i64_e32 vcc, 0, v[22:23]
	v_not_b32_e32 v22, v23
	v_ashrrev_i32_e32 v22, 31, v22
	v_and_b32_e32 v17, exec_hi, v17
	v_and_b32_e32 v20, exec_lo, v20
	v_xor_b32_e32 v23, vcc_hi, v22
	v_xor_b32_e32 v22, vcc_lo, v22
	v_and_b32_e32 v17, v17, v23
	v_and_b32_e32 v20, v20, v22
	v_lshlrev_b32_e32 v23, 29, v16
	v_mov_b32_e32 v22, v21
	v_cmp_gt_i64_e32 vcc, 0, v[22:23]
	v_not_b32_e32 v22, v23
	v_ashrrev_i32_e32 v22, 31, v22
	v_xor_b32_e32 v23, vcc_hi, v22
	v_xor_b32_e32 v22, vcc_lo, v22
	v_and_b32_e32 v17, v17, v23
	v_and_b32_e32 v20, v20, v22
	v_lshlrev_b32_e32 v23, 28, v16
	v_mov_b32_e32 v22, v21
	v_cmp_gt_i64_e32 vcc, 0, v[22:23]
	v_not_b32_e32 v22, v23
	v_ashrrev_i32_e32 v22, 31, v22
	;; [unrolled: 9-line block ×5, first 2 shown]
	v_xor_b32_e32 v23, vcc_hi, v22
	v_and_b32_e32 v23, v17, v23
	v_lshlrev_b32_e32 v17, 24, v16
	v_mov_b32_e32 v16, v21
	v_xor_b32_e32 v22, vcc_lo, v22
	v_cmp_gt_i64_e32 vcc, 0, v[16:17]
	v_not_b32_e32 v16, v17
	v_ashrrev_i32_e32 v16, 31, v16
	v_and_b32_e32 v20, v20, v22
	v_xor_b32_e32 v17, vcc_hi, v16
	v_xor_b32_e32 v16, vcc_lo, v16
	v_and_b32_e32 v16, v20, v16
	v_and_b32_e32 v17, v23, v17
	v_mbcnt_lo_u32_b32 v20, v16, 0
	v_mbcnt_hi_u32_b32 v34, v17, v20
	v_cmp_eq_u32_e32 vcc, 0, v34
	v_cmp_ne_u64_e64 s[34:35], 0, v[16:17]
	s_and_b64 s[40:41], s[34:35], vcc
	; wave barrier
	s_and_saveexec_b64 s[34:35], s[40:41]
	s_cbranch_execz .LBB58_14
; %bb.13:                               ;   in Loop: Header=BB58_6 Depth=2
	v_bcnt_u32_b32 v16, v16, 0
	v_bcnt_u32_b32 v16, v17, v16
	s_waitcnt lgkmcnt(0)
	v_add_u32_e32 v16, v32, v16
	ds_write_b32 v33, v16
.LBB58_14:                              ;   in Loop: Header=BB58_6 Depth=2
	s_or_b64 exec, exec, s[34:35]
	v_lshrrev_b64 v[16:17], s36, v[6:7]
	v_mul_u32_u24_sdwa v17, v16, v64 dst_sel:DWORD dst_unused:UNUSED_PAD src0_sel:BYTE_0 src1_sel:DWORD
	v_and_b32_e32 v20, 1, v16
	v_add_lshl_u32 v17, v17, v47, 2
	v_lshl_add_u64 v[22:23], v[20:21], 0, -1
	v_cmp_ne_u32_e32 vcc, 0, v20
	; wave barrier
	v_add_u32_e32 v66, 20, v17
	ds_read_b32 v35, v17 offset:20
	v_xor_b32_e32 v17, vcc_hi, v23
	v_xor_b32_e32 v20, vcc_lo, v22
	v_lshlrev_b32_e32 v23, 30, v16
	v_mov_b32_e32 v22, v21
	v_cmp_gt_i64_e32 vcc, 0, v[22:23]
	v_not_b32_e32 v22, v23
	v_ashrrev_i32_e32 v22, 31, v22
	v_and_b32_e32 v17, exec_hi, v17
	v_and_b32_e32 v20, exec_lo, v20
	v_xor_b32_e32 v23, vcc_hi, v22
	v_xor_b32_e32 v22, vcc_lo, v22
	v_and_b32_e32 v17, v17, v23
	v_and_b32_e32 v20, v20, v22
	v_lshlrev_b32_e32 v23, 29, v16
	v_mov_b32_e32 v22, v21
	v_cmp_gt_i64_e32 vcc, 0, v[22:23]
	v_not_b32_e32 v22, v23
	v_ashrrev_i32_e32 v22, 31, v22
	v_xor_b32_e32 v23, vcc_hi, v22
	v_xor_b32_e32 v22, vcc_lo, v22
	v_and_b32_e32 v17, v17, v23
	v_and_b32_e32 v20, v20, v22
	v_lshlrev_b32_e32 v23, 28, v16
	v_mov_b32_e32 v22, v21
	v_cmp_gt_i64_e32 vcc, 0, v[22:23]
	v_not_b32_e32 v22, v23
	v_ashrrev_i32_e32 v22, 31, v22
	v_xor_b32_e32 v23, vcc_hi, v22
	v_xor_b32_e32 v22, vcc_lo, v22
	v_and_b32_e32 v17, v17, v23
	v_and_b32_e32 v20, v20, v22
	v_lshlrev_b32_e32 v23, 27, v16
	v_mov_b32_e32 v22, v21
	v_cmp_gt_i64_e32 vcc, 0, v[22:23]
	v_not_b32_e32 v22, v23
	v_ashrrev_i32_e32 v22, 31, v22
	v_xor_b32_e32 v23, vcc_hi, v22
	v_xor_b32_e32 v22, vcc_lo, v22
	v_and_b32_e32 v17, v17, v23
	v_and_b32_e32 v20, v20, v22
	v_lshlrev_b32_e32 v23, 26, v16
	v_mov_b32_e32 v22, v21
	v_cmp_gt_i64_e32 vcc, 0, v[22:23]
	v_not_b32_e32 v22, v23
	v_ashrrev_i32_e32 v22, 31, v22
	v_xor_b32_e32 v23, vcc_hi, v22
	v_xor_b32_e32 v22, vcc_lo, v22
	v_and_b32_e32 v17, v17, v23
	v_and_b32_e32 v20, v20, v22
	v_lshlrev_b32_e32 v23, 25, v16
	v_mov_b32_e32 v22, v21
	v_cmp_gt_i64_e32 vcc, 0, v[22:23]
	v_not_b32_e32 v22, v23
	v_ashrrev_i32_e32 v22, 31, v22
	v_xor_b32_e32 v23, vcc_hi, v22
	v_and_b32_e32 v23, v17, v23
	v_lshlrev_b32_e32 v17, 24, v16
	v_mov_b32_e32 v16, v21
	v_xor_b32_e32 v22, vcc_lo, v22
	v_cmp_gt_i64_e32 vcc, 0, v[16:17]
	v_not_b32_e32 v16, v17
	v_ashrrev_i32_e32 v16, 31, v16
	v_and_b32_e32 v20, v20, v22
	v_xor_b32_e32 v17, vcc_hi, v16
	v_xor_b32_e32 v16, vcc_lo, v16
	v_and_b32_e32 v16, v20, v16
	v_and_b32_e32 v17, v23, v17
	v_mbcnt_lo_u32_b32 v20, v16, 0
	v_mbcnt_hi_u32_b32 v67, v17, v20
	v_cmp_eq_u32_e32 vcc, 0, v67
	v_cmp_ne_u64_e64 s[34:35], 0, v[16:17]
	s_and_b64 s[40:41], s[34:35], vcc
	; wave barrier
	s_and_saveexec_b64 s[34:35], s[40:41]
	s_cbranch_execz .LBB58_16
; %bb.15:                               ;   in Loop: Header=BB58_6 Depth=2
	v_bcnt_u32_b32 v16, v16, 0
	v_bcnt_u32_b32 v16, v17, v16
	s_waitcnt lgkmcnt(0)
	v_add_u32_e32 v16, v35, v16
	ds_write_b32 v66, v16
.LBB58_16:                              ;   in Loop: Header=BB58_6 Depth=2
	s_or_b64 exec, exec, s[34:35]
	v_lshrrev_b64 v[16:17], s36, v[4:5]
	v_mul_u32_u24_sdwa v17, v16, v64 dst_sel:DWORD dst_unused:UNUSED_PAD src0_sel:BYTE_0 src1_sel:DWORD
	v_and_b32_e32 v20, 1, v16
	v_add_lshl_u32 v17, v17, v47, 2
	v_lshl_add_u64 v[22:23], v[20:21], 0, -1
	v_cmp_ne_u32_e32 vcc, 0, v20
	; wave barrier
	v_add_u32_e32 v69, 20, v17
	ds_read_b32 v68, v17 offset:20
	v_xor_b32_e32 v17, vcc_hi, v23
	v_xor_b32_e32 v20, vcc_lo, v22
	v_lshlrev_b32_e32 v23, 30, v16
	v_mov_b32_e32 v22, v21
	v_cmp_gt_i64_e32 vcc, 0, v[22:23]
	v_not_b32_e32 v22, v23
	v_ashrrev_i32_e32 v22, 31, v22
	v_and_b32_e32 v17, exec_hi, v17
	v_and_b32_e32 v20, exec_lo, v20
	v_xor_b32_e32 v23, vcc_hi, v22
	v_xor_b32_e32 v22, vcc_lo, v22
	v_and_b32_e32 v17, v17, v23
	v_and_b32_e32 v20, v20, v22
	v_lshlrev_b32_e32 v23, 29, v16
	v_mov_b32_e32 v22, v21
	v_cmp_gt_i64_e32 vcc, 0, v[22:23]
	v_not_b32_e32 v22, v23
	v_ashrrev_i32_e32 v22, 31, v22
	v_xor_b32_e32 v23, vcc_hi, v22
	v_xor_b32_e32 v22, vcc_lo, v22
	v_and_b32_e32 v17, v17, v23
	v_and_b32_e32 v20, v20, v22
	v_lshlrev_b32_e32 v23, 28, v16
	v_mov_b32_e32 v22, v21
	v_cmp_gt_i64_e32 vcc, 0, v[22:23]
	v_not_b32_e32 v22, v23
	v_ashrrev_i32_e32 v22, 31, v22
	;; [unrolled: 9-line block ×5, first 2 shown]
	v_xor_b32_e32 v23, vcc_hi, v22
	v_and_b32_e32 v23, v17, v23
	v_lshlrev_b32_e32 v17, 24, v16
	v_mov_b32_e32 v16, v21
	v_xor_b32_e32 v22, vcc_lo, v22
	v_cmp_gt_i64_e32 vcc, 0, v[16:17]
	v_not_b32_e32 v16, v17
	v_ashrrev_i32_e32 v16, 31, v16
	v_and_b32_e32 v20, v20, v22
	v_xor_b32_e32 v17, vcc_hi, v16
	v_xor_b32_e32 v16, vcc_lo, v16
	v_and_b32_e32 v16, v20, v16
	v_and_b32_e32 v17, v23, v17
	v_mbcnt_lo_u32_b32 v20, v16, 0
	v_mbcnt_hi_u32_b32 v70, v17, v20
	v_cmp_eq_u32_e32 vcc, 0, v70
	v_cmp_ne_u64_e64 s[34:35], 0, v[16:17]
	s_and_b64 s[40:41], s[34:35], vcc
	; wave barrier
	s_and_saveexec_b64 s[34:35], s[40:41]
	s_cbranch_execz .LBB58_18
; %bb.17:                               ;   in Loop: Header=BB58_6 Depth=2
	v_bcnt_u32_b32 v16, v16, 0
	v_bcnt_u32_b32 v16, v17, v16
	s_waitcnt lgkmcnt(0)
	v_add_u32_e32 v16, v68, v16
	ds_write_b32 v69, v16
.LBB58_18:                              ;   in Loop: Header=BB58_6 Depth=2
	s_or_b64 exec, exec, s[34:35]
	v_lshrrev_b64 v[16:17], s36, v[2:3]
	v_mul_u32_u24_sdwa v17, v16, v64 dst_sel:DWORD dst_unused:UNUSED_PAD src0_sel:BYTE_0 src1_sel:DWORD
	v_and_b32_e32 v20, 1, v16
	v_add_lshl_u32 v17, v17, v47, 2
	v_lshl_add_u64 v[22:23], v[20:21], 0, -1
	v_cmp_ne_u32_e32 vcc, 0, v20
	; wave barrier
	v_add_u32_e32 v72, 20, v17
	ds_read_b32 v71, v17 offset:20
	v_xor_b32_e32 v17, vcc_hi, v23
	v_xor_b32_e32 v20, vcc_lo, v22
	v_lshlrev_b32_e32 v23, 30, v16
	v_mov_b32_e32 v22, v21
	v_cmp_gt_i64_e32 vcc, 0, v[22:23]
	v_not_b32_e32 v22, v23
	v_ashrrev_i32_e32 v22, 31, v22
	v_and_b32_e32 v17, exec_hi, v17
	v_and_b32_e32 v20, exec_lo, v20
	v_xor_b32_e32 v23, vcc_hi, v22
	v_xor_b32_e32 v22, vcc_lo, v22
	v_and_b32_e32 v17, v17, v23
	v_and_b32_e32 v20, v20, v22
	v_lshlrev_b32_e32 v23, 29, v16
	v_mov_b32_e32 v22, v21
	v_cmp_gt_i64_e32 vcc, 0, v[22:23]
	v_not_b32_e32 v22, v23
	v_ashrrev_i32_e32 v22, 31, v22
	v_xor_b32_e32 v23, vcc_hi, v22
	v_xor_b32_e32 v22, vcc_lo, v22
	v_and_b32_e32 v17, v17, v23
	v_and_b32_e32 v20, v20, v22
	v_lshlrev_b32_e32 v23, 28, v16
	v_mov_b32_e32 v22, v21
	v_cmp_gt_i64_e32 vcc, 0, v[22:23]
	v_not_b32_e32 v22, v23
	v_ashrrev_i32_e32 v22, 31, v22
	;; [unrolled: 9-line block ×5, first 2 shown]
	v_xor_b32_e32 v23, vcc_hi, v22
	v_and_b32_e32 v23, v17, v23
	v_lshlrev_b32_e32 v17, 24, v16
	v_mov_b32_e32 v16, v21
	v_xor_b32_e32 v22, vcc_lo, v22
	v_cmp_gt_i64_e32 vcc, 0, v[16:17]
	v_not_b32_e32 v16, v17
	v_ashrrev_i32_e32 v16, 31, v16
	v_and_b32_e32 v20, v20, v22
	v_xor_b32_e32 v17, vcc_hi, v16
	v_xor_b32_e32 v16, vcc_lo, v16
	v_and_b32_e32 v16, v20, v16
	v_and_b32_e32 v17, v23, v17
	v_mbcnt_lo_u32_b32 v20, v16, 0
	v_mbcnt_hi_u32_b32 v73, v17, v20
	v_cmp_eq_u32_e32 vcc, 0, v73
	v_cmp_ne_u64_e64 s[34:35], 0, v[16:17]
	s_and_b64 s[40:41], s[34:35], vcc
	; wave barrier
	s_and_saveexec_b64 s[34:35], s[40:41]
	s_cbranch_execz .LBB58_20
; %bb.19:                               ;   in Loop: Header=BB58_6 Depth=2
	v_bcnt_u32_b32 v16, v16, 0
	v_bcnt_u32_b32 v16, v17, v16
	s_waitcnt lgkmcnt(0)
	v_add_u32_e32 v16, v71, v16
	ds_write_b32 v72, v16
.LBB58_20:                              ;   in Loop: Header=BB58_6 Depth=2
	s_or_b64 exec, exec, s[34:35]
	v_lshrrev_b64 v[16:17], s36, v[0:1]
	v_mul_u32_u24_sdwa v17, v16, v64 dst_sel:DWORD dst_unused:UNUSED_PAD src0_sel:BYTE_0 src1_sel:DWORD
	v_and_b32_e32 v20, 1, v16
	v_add_lshl_u32 v17, v17, v47, 2
	v_lshl_add_u64 v[22:23], v[20:21], 0, -1
	v_cmp_ne_u32_e32 vcc, 0, v20
	; wave barrier
	v_add_u32_e32 v75, 20, v17
	ds_read_b32 v74, v17 offset:20
	v_xor_b32_e32 v17, vcc_hi, v23
	v_xor_b32_e32 v20, vcc_lo, v22
	v_lshlrev_b32_e32 v23, 30, v16
	v_mov_b32_e32 v22, v21
	v_cmp_gt_i64_e32 vcc, 0, v[22:23]
	v_not_b32_e32 v22, v23
	v_ashrrev_i32_e32 v22, 31, v22
	v_and_b32_e32 v17, exec_hi, v17
	v_and_b32_e32 v20, exec_lo, v20
	v_xor_b32_e32 v23, vcc_hi, v22
	v_xor_b32_e32 v22, vcc_lo, v22
	v_and_b32_e32 v17, v17, v23
	v_and_b32_e32 v20, v20, v22
	v_lshlrev_b32_e32 v23, 29, v16
	v_mov_b32_e32 v22, v21
	v_cmp_gt_i64_e32 vcc, 0, v[22:23]
	v_not_b32_e32 v22, v23
	v_ashrrev_i32_e32 v22, 31, v22
	v_xor_b32_e32 v23, vcc_hi, v22
	v_xor_b32_e32 v22, vcc_lo, v22
	v_and_b32_e32 v17, v17, v23
	v_and_b32_e32 v20, v20, v22
	v_lshlrev_b32_e32 v23, 28, v16
	v_mov_b32_e32 v22, v21
	v_cmp_gt_i64_e32 vcc, 0, v[22:23]
	v_not_b32_e32 v22, v23
	v_ashrrev_i32_e32 v22, 31, v22
	;; [unrolled: 9-line block ×5, first 2 shown]
	v_xor_b32_e32 v23, vcc_hi, v22
	v_and_b32_e32 v23, v17, v23
	v_lshlrev_b32_e32 v17, 24, v16
	v_mov_b32_e32 v16, v21
	v_xor_b32_e32 v22, vcc_lo, v22
	v_cmp_gt_i64_e32 vcc, 0, v[16:17]
	v_not_b32_e32 v16, v17
	v_ashrrev_i32_e32 v16, 31, v16
	v_and_b32_e32 v20, v20, v22
	v_xor_b32_e32 v17, vcc_hi, v16
	v_xor_b32_e32 v16, vcc_lo, v16
	v_and_b32_e32 v16, v20, v16
	v_and_b32_e32 v17, v23, v17
	v_mbcnt_lo_u32_b32 v20, v16, 0
	v_mbcnt_hi_u32_b32 v20, v17, v20
	v_cmp_eq_u32_e32 vcc, 0, v20
	v_cmp_ne_u64_e64 s[34:35], 0, v[16:17]
	s_and_b64 s[40:41], s[34:35], vcc
	; wave barrier
	s_and_saveexec_b64 s[34:35], s[40:41]
	s_cbranch_execz .LBB58_22
; %bb.21:                               ;   in Loop: Header=BB58_6 Depth=2
	v_bcnt_u32_b32 v16, v16, 0
	v_bcnt_u32_b32 v16, v17, v16
	s_waitcnt lgkmcnt(0)
	v_add_u32_e32 v16, v74, v16
	ds_write_b32 v75, v16
.LBB58_22:                              ;   in Loop: Header=BB58_6 Depth=2
	s_or_b64 exec, exec, s[34:35]
	; wave barrier
	s_waitcnt lgkmcnt(0)
	s_barrier
	ds_read2_b32 v[22:23], v45 offset0:5 offset1:6
	ds_read2_b32 v[16:17], v46 offset0:2 offset1:3
	s_waitcnt lgkmcnt(1)
	v_add_u32_e32 v76, v23, v22
	s_waitcnt lgkmcnt(0)
	v_add3_u32 v17, v76, v16, v17
	s_nop 1
	v_mov_b32_dpp v76, v17 row_shr:1 row_mask:0xf bank_mask:0xf
	v_cndmask_b32_e64 v76, v76, 0, s[2:3]
	v_add_u32_e32 v17, v76, v17
	s_nop 1
	v_mov_b32_dpp v76, v17 row_shr:2 row_mask:0xf bank_mask:0xf
	v_cndmask_b32_e64 v76, 0, v76, s[4:5]
	v_add_u32_e32 v17, v17, v76
	s_nop 1
	v_mov_b32_dpp v76, v17 row_shr:4 row_mask:0xf bank_mask:0xf
	v_cndmask_b32_e64 v76, 0, v76, s[6:7]
	v_add_u32_e32 v17, v17, v76
	s_nop 1
	v_mov_b32_dpp v76, v17 row_shr:8 row_mask:0xf bank_mask:0xf
	v_cndmask_b32_e64 v76, 0, v76, s[8:9]
	v_add_u32_e32 v17, v17, v76
	s_nop 1
	v_mov_b32_dpp v76, v17 row_bcast:15 row_mask:0xf bank_mask:0xf
	v_cndmask_b32_e64 v76, v76, 0, s[10:11]
	v_add_u32_e32 v17, v17, v76
	s_nop 1
	v_mov_b32_dpp v76, v17 row_bcast:31 row_mask:0xf bank_mask:0xf
	v_cndmask_b32_e64 v76, 0, v76, s[12:13]
	v_add_u32_e32 v17, v17, v76
	s_and_saveexec_b64 s[34:35], s[14:15]
	s_cbranch_execz .LBB58_24
; %bb.23:                               ;   in Loop: Header=BB58_6 Depth=2
	ds_write_b32 v50, v17
.LBB58_24:                              ;   in Loop: Header=BB58_6 Depth=2
	s_or_b64 exec, exec, s[34:35]
	s_waitcnt lgkmcnt(0)
	s_barrier
	s_and_saveexec_b64 s[34:35], s[16:17]
	s_cbranch_execz .LBB58_26
; %bb.25:                               ;   in Loop: Header=BB58_6 Depth=2
	ds_read_b32 v76, v51
	s_waitcnt lgkmcnt(0)
	s_nop 0
	v_mov_b32_dpp v77, v76 row_shr:1 row_mask:0xf bank_mask:0xf
	v_cndmask_b32_e64 v77, v77, 0, s[26:27]
	v_add_u32_e32 v76, v77, v76
	s_nop 1
	v_mov_b32_dpp v77, v76 row_shr:2 row_mask:0xf bank_mask:0xf
	v_cndmask_b32_e64 v77, 0, v77, s[28:29]
	v_add_u32_e32 v76, v76, v77
	;; [unrolled: 4-line block ×3, first 2 shown]
	ds_write_b32 v51, v76
.LBB58_26:                              ;   in Loop: Header=BB58_6 Depth=2
	s_or_b64 exec, exec, s[34:35]
	v_mov_b32_e32 v76, 0
	s_waitcnt lgkmcnt(0)
	s_barrier
	s_and_saveexec_b64 s[34:35], s[18:19]
	s_cbranch_execz .LBB58_28
; %bb.27:                               ;   in Loop: Header=BB58_6 Depth=2
	ds_read_b32 v76, v52
.LBB58_28:                              ;   in Loop: Header=BB58_6 Depth=2
	s_or_b64 exec, exec, s[34:35]
	s_waitcnt lgkmcnt(0)
	v_add_u32_e32 v17, v76, v17
	ds_bpermute_b32 v17, v49, v17
	s_cmp_gt_u32 s36, 55
	s_waitcnt lgkmcnt(0)
	v_cndmask_b32_e64 v17, v17, v76, s[20:21]
	v_cndmask_b32_e64 v17, v17, 0, s[22:23]
	v_add_u32_e32 v22, v17, v22
	v_add_u32_e32 v23, v22, v23
	v_add_u32_e32 v16, v23, v16
	ds_write2_b32 v45, v17, v22 offset0:5 offset1:6
	ds_write2_b32 v46, v23, v16 offset0:2 offset1:3
	s_waitcnt lgkmcnt(0)
	s_barrier
	ds_read_b32 v16, v24
	ds_read_b32 v17, v27
	;; [unrolled: 1-line block ×8, first 2 shown]
	s_waitcnt lgkmcnt(7)
	v_add_u32_e32 v77, v16, v25
	s_waitcnt lgkmcnt(6)
	v_add3_u32 v76, v28, v26, v17
	s_waitcnt lgkmcnt(5)
	v_add3_u32 v75, v31, v29, v22
	;; [unrolled: 2-line block ×7, first 2 shown]
	s_cbranch_scc0 .LBB58_5
; %bb.29:                               ;   in Loop: Header=BB58_2 Depth=1
                                        ; implicit-def: $vgpr16_vgpr17
                                        ; implicit-def: $vgpr22_vgpr23
                                        ; implicit-def: $vgpr24_vgpr25
                                        ; implicit-def: $vgpr26_vgpr27
                                        ; implicit-def: $vgpr28_vgpr29
                                        ; implicit-def: $vgpr30_vgpr31
                                        ; implicit-def: $vgpr32_vgpr33
                                        ; implicit-def: $vgpr34_vgpr35
                                        ; implicit-def: $sgpr36_sgpr37
.LBB58_30:                              ;   in Loop: Header=BB58_2 Depth=1
	v_lshrrev_b32_e32 v16, 2, v77
	v_and_b32_e32 v16, 0x3ffffff8, v16
	v_lshl_add_u32 v16, v77, 3, v16
	s_barrier
	ds_write_b64 v16, v[14:15]
	v_lshrrev_b32_e32 v14, 2, v76
	v_and_b32_e32 v14, 0x3ffffff8, v14
	v_lshl_add_u32 v14, v76, 3, v14
	ds_write_b64 v14, v[12:13]
	v_lshrrev_b32_e32 v12, 2, v75
	v_and_b32_e32 v12, 0x3ffffff8, v12
	v_lshl_add_u32 v12, v75, 3, v12
	;; [unrolled: 4-line block ×7, first 2 shown]
	ds_write_b64 v2, v[0:1]
	s_waitcnt lgkmcnt(0)
	s_barrier
	ds_read2_b64 v[14:17], v53 offset1:1
	ds_read2_b64 v[10:13], v53 offset0:2 offset1:3
	ds_read2_b64 v[6:9], v53 offset0:4 offset1:5
	ds_read2_b64 v[2:5], v53 offset0:6 offset1:7
	s_waitcnt lgkmcnt(0)
	s_barrier
	s_and_saveexec_b64 s[34:35], s[0:1]
	s_cbranch_execz .LBB58_32
; %bb.31:                               ;   in Loop: Header=BB58_2 Depth=1
	ds_write2st64_b32 v65, v63, v63 offset0:20 offset1:25
.LBB58_32:                              ;   in Loop: Header=BB58_2 Depth=1
	s_or_b64 exec, exec, s[34:35]
	v_cmp_ne_u32_e32 vcc, v2, v4
	v_lshlrev_b32_e32 v1, 2, v2
	s_waitcnt lgkmcnt(0)
	s_barrier
	ds_write_b64 v54, v[4:5]
	s_and_saveexec_b64 s[34:35], vcc
	s_cbranch_execz .LBB58_34
; %bb.33:                               ;   in Loop: Header=BB58_2 Depth=1
	v_lshlrev_b32_e32 v0, 2, v4
	ds_write_b32 v0, v55 offset:5120
	ds_write_b32 v1, v55 offset:6400
.LBB58_34:                              ;   in Loop: Header=BB58_2 Depth=1
	s_or_b64 exec, exec, s[34:35]
	v_cmp_ne_u32_e32 vcc, v2, v8
	v_lshlrev_b32_e32 v20, 2, v8
	v_mov_b32_e32 v0, v2
	s_and_saveexec_b64 s[34:35], vcc
	s_cbranch_execz .LBB58_36
; %bb.35:                               ;   in Loop: Header=BB58_2 Depth=1
	v_mov_b32_e32 v0, v8
	ds_write_b32 v1, v56 offset:5120
	ds_write_b32 v20, v56 offset:6400
.LBB58_36:                              ;   in Loop: Header=BB58_2 Depth=1
	s_or_b64 exec, exec, s[34:35]
	v_cmp_ne_u32_e32 vcc, v0, v6
	v_lshlrev_b32_e32 v1, 2, v6
	s_and_saveexec_b64 s[34:35], vcc
	s_cbranch_execz .LBB58_38
; %bb.37:                               ;   in Loop: Header=BB58_2 Depth=1
	v_mov_b32_e32 v0, v6
	ds_write_b32 v20, v57 offset:5120
	ds_write_b32 v1, v57 offset:6400
.LBB58_38:                              ;   in Loop: Header=BB58_2 Depth=1
	s_or_b64 exec, exec, s[34:35]
	v_cmp_ne_u32_e32 vcc, v0, v12
	v_lshlrev_b32_e32 v20, 2, v12
	;; [unrolled: 10-line block ×5, first 2 shown]
	s_and_saveexec_b64 s[34:35], vcc
	s_cbranch_execz .LBB58_46
; %bb.45:                               ;   in Loop: Header=BB58_2 Depth=1
	ds_write_b32 v20, v61 offset:5120
	ds_write_b32 v0, v61 offset:6400
.LBB58_46:                              ;   in Loop: Header=BB58_2 Depth=1
	s_or_b64 exec, exec, s[34:35]
	s_waitcnt lgkmcnt(0)
	s_barrier
	s_and_saveexec_b64 s[34:35], s[24:25]
	s_cbranch_execz .LBB58_49
; %bb.47:                               ;   in Loop: Header=BB58_2 Depth=1
	ds_read_b32 v1, v62
	s_waitcnt lgkmcnt(0)
	v_cmp_ne_u32_e32 vcc, v1, v14
	s_and_b64 exec, exec, vcc
	s_cbranch_execz .LBB58_49
; %bb.48:                               ;   in Loop: Header=BB58_2 Depth=1
	ds_write_b32 v0, v19 offset:5120
	ds_read_b32 v1, v62
	s_waitcnt lgkmcnt(0)
	v_lshlrev_b32_e32 v1, 2, v1
	ds_write_b32 v1, v19 offset:6400
.LBB58_49:                              ;   in Loop: Header=BB58_2 Depth=1
	s_or_b64 exec, exec, s[34:35]
	s_waitcnt lgkmcnt(0)
	s_barrier
	s_and_saveexec_b64 s[34:35], s[22:23]
	s_cbranch_execz .LBB58_51
; %bb.50:                               ;   in Loop: Header=BB58_2 Depth=1
	ds_write_b32 v0, v21 offset:5120
.LBB58_51:                              ;   in Loop: Header=BB58_2 Depth=1
	s_or_b64 exec, exec, s[34:35]
	s_waitcnt lgkmcnt(0)
	s_barrier
	s_and_saveexec_b64 s[34:35], s[0:1]
	s_cbranch_execz .LBB58_1
; %bb.52:                               ;   in Loop: Header=BB58_2 Depth=1
	ds_read2st64_b32 v[0:1], v65 offset0:20 offset1:25
	ds_read_b64 v[22:23], v48
	s_waitcnt lgkmcnt(1)
	v_sub_u32_e32 v20, v1, v0
	s_waitcnt lgkmcnt(0)
	v_lshl_add_u64 v[0:1], v[22:23], 0, v[20:21]
	ds_write_b64 v48, v[0:1]
	s_branch .LBB58_1
.LBB58_53:
	s_and_saveexec_b64 s[2:3], s[0:1]
	s_cbranch_execz .LBB58_55
; %bb.54:
	ds_read_b64 v[0:1], v48
	v_mov_b32_e32 v2, s38
	v_mov_b32_e32 v3, s39
	;; [unrolled: 1-line block ×3, first 2 shown]
	v_lshl_add_u64 v[2:3], v[18:19], 3, v[2:3]
	s_waitcnt lgkmcnt(0)
	global_store_dwordx2 v[2:3], v[0:1], off
.LBB58_55:
	s_endpgm
	.section	.rodata,"a",@progbits
	.p2align	6, 0x0
	.amdhsa_kernel _Z6kernelI9histogramILN6hipcub23BlockHistogramAlgorithmE1EEyLj320ELj8ELj320ELj100EEvPKT0_PS4_
		.amdhsa_group_segment_fixed_size 23680
		.amdhsa_private_segment_fixed_size 0
		.amdhsa_kernarg_size 272
		.amdhsa_user_sgpr_count 2
		.amdhsa_user_sgpr_dispatch_ptr 0
		.amdhsa_user_sgpr_queue_ptr 0
		.amdhsa_user_sgpr_kernarg_segment_ptr 1
		.amdhsa_user_sgpr_dispatch_id 0
		.amdhsa_user_sgpr_kernarg_preload_length 0
		.amdhsa_user_sgpr_kernarg_preload_offset 0
		.amdhsa_user_sgpr_private_segment_size 0
		.amdhsa_uses_dynamic_stack 0
		.amdhsa_enable_private_segment 0
		.amdhsa_system_sgpr_workgroup_id_x 1
		.amdhsa_system_sgpr_workgroup_id_y 0
		.amdhsa_system_sgpr_workgroup_id_z 0
		.amdhsa_system_sgpr_workgroup_info 0
		.amdhsa_system_vgpr_workitem_id 2
		.amdhsa_next_free_vgpr 78
		.amdhsa_next_free_sgpr 42
		.amdhsa_accum_offset 80
		.amdhsa_reserve_vcc 1
		.amdhsa_float_round_mode_32 0
		.amdhsa_float_round_mode_16_64 0
		.amdhsa_float_denorm_mode_32 3
		.amdhsa_float_denorm_mode_16_64 3
		.amdhsa_dx10_clamp 1
		.amdhsa_ieee_mode 1
		.amdhsa_fp16_overflow 0
		.amdhsa_tg_split 0
		.amdhsa_exception_fp_ieee_invalid_op 0
		.amdhsa_exception_fp_denorm_src 0
		.amdhsa_exception_fp_ieee_div_zero 0
		.amdhsa_exception_fp_ieee_overflow 0
		.amdhsa_exception_fp_ieee_underflow 0
		.amdhsa_exception_fp_ieee_inexact 0
		.amdhsa_exception_int_div_zero 0
	.end_amdhsa_kernel
	.section	.text._Z6kernelI9histogramILN6hipcub23BlockHistogramAlgorithmE1EEyLj320ELj8ELj320ELj100EEvPKT0_PS4_,"axG",@progbits,_Z6kernelI9histogramILN6hipcub23BlockHistogramAlgorithmE1EEyLj320ELj8ELj320ELj100EEvPKT0_PS4_,comdat
.Lfunc_end58:
	.size	_Z6kernelI9histogramILN6hipcub23BlockHistogramAlgorithmE1EEyLj320ELj8ELj320ELj100EEvPKT0_PS4_, .Lfunc_end58-_Z6kernelI9histogramILN6hipcub23BlockHistogramAlgorithmE1EEyLj320ELj8ELj320ELj100EEvPKT0_PS4_
                                        ; -- End function
	.section	.AMDGPU.csdata,"",@progbits
; Kernel info:
; codeLenInByte = 5752
; NumSgprs: 48
; NumVgprs: 78
; NumAgprs: 0
; TotalNumVgprs: 78
; ScratchSize: 0
; MemoryBound: 0
; FloatMode: 240
; IeeeMode: 1
; LDSByteSize: 23680 bytes/workgroup (compile time only)
; SGPRBlocks: 5
; VGPRBlocks: 9
; NumSGPRsForWavesPerEU: 48
; NumVGPRsForWavesPerEU: 78
; AccumOffset: 80
; Occupancy: 3
; WaveLimiterHint : 0
; COMPUTE_PGM_RSRC2:SCRATCH_EN: 0
; COMPUTE_PGM_RSRC2:USER_SGPR: 2
; COMPUTE_PGM_RSRC2:TRAP_HANDLER: 0
; COMPUTE_PGM_RSRC2:TGID_X_EN: 1
; COMPUTE_PGM_RSRC2:TGID_Y_EN: 0
; COMPUTE_PGM_RSRC2:TGID_Z_EN: 0
; COMPUTE_PGM_RSRC2:TIDIG_COMP_CNT: 2
; COMPUTE_PGM_RSRC3_GFX90A:ACCUM_OFFSET: 19
; COMPUTE_PGM_RSRC3_GFX90A:TG_SPLIT: 0
	.section	.text._Z6kernelI9histogramILN6hipcub23BlockHistogramAlgorithmE1EEyLj320ELj16ELj320ELj100EEvPKT0_PS4_,"axG",@progbits,_Z6kernelI9histogramILN6hipcub23BlockHistogramAlgorithmE1EEyLj320ELj16ELj320ELj100EEvPKT0_PS4_,comdat
	.protected	_Z6kernelI9histogramILN6hipcub23BlockHistogramAlgorithmE1EEyLj320ELj16ELj320ELj100EEvPKT0_PS4_ ; -- Begin function _Z6kernelI9histogramILN6hipcub23BlockHistogramAlgorithmE1EEyLj320ELj16ELj320ELj100EEvPKT0_PS4_
	.globl	_Z6kernelI9histogramILN6hipcub23BlockHistogramAlgorithmE1EEyLj320ELj16ELj320ELj100EEvPKT0_PS4_
	.p2align	8
	.type	_Z6kernelI9histogramILN6hipcub23BlockHistogramAlgorithmE1EEyLj320ELj16ELj320ELj100EEvPKT0_PS4_,@function
_Z6kernelI9histogramILN6hipcub23BlockHistogramAlgorithmE1EEyLj320ELj16ELj320ELj100EEvPKT0_PS4_: ; @_Z6kernelI9histogramILN6hipcub23BlockHistogramAlgorithmE1EEyLj320ELj16ELj320ELj100EEvPKT0_PS4_
; %bb.0:
	s_load_dwordx4 s[36:39], s[0:1], 0x0
	s_load_dword s3, s[0:1], 0x1c
	s_mulk_i32 s2, 0x140
	v_and_b32_e32 v38, 0x3ff, v0
	v_add_u32_e32 v34, s2, v38
	s_waitcnt lgkmcnt(0)
	v_mov_b32_e32 v2, s36
	v_mov_b32_e32 v3, s37
	v_lshlrev_b32_e32 v36, 4, v34
	v_mov_b32_e32 v37, 0
	v_lshl_add_u64 v[40:41], v[36:37], 3, v[2:3]
	global_load_dwordx4 v[2:5], v[40:41], off offset:48
	global_load_dwordx4 v[10:13], v[40:41], off offset:32
	;; [unrolled: 1-line block ×3, first 2 shown]
	global_load_dwordx4 v[26:29], v[40:41], off
	global_load_dwordx4 v[6:9], v[40:41], off offset:112
	global_load_dwordx4 v[14:17], v[40:41], off offset:96
	;; [unrolled: 1-line block ×4, first 2 shown]
	v_mbcnt_lo_u32_b32 v1, -1, 0
	v_mbcnt_hi_u32_b32 v36, -1, v1
	v_and_b32_e32 v39, 0x1c0, v38
	v_add_u32_e32 v1, v36, v39
	v_lshlrev_b32_e32 v40, 2, v1
	v_lshlrev_b32_e32 v35, 4, v38
	v_and_b32_e32 v40, 0xff8, v40
	s_movk_i32 s2, 0x1c00
	v_lshl_add_u32 v68, v1, 7, v40
	v_and_or_b32 v1, v35, s2, v36
	v_lshrrev_b32_e32 v40, 5, v1
	v_add_lshl_u32 v69, v40, v1, 3
	v_add_u32_e32 v40, 64, v1
	v_lshrrev_b32_e32 v40, 5, v40
	v_add_lshl_u32 v70, v40, v1, 3
	v_or_b32_e32 v40, 0x80, v1
	v_lshrrev_b32_e32 v40, 5, v40
	v_add_lshl_u32 v71, v40, v1, 3
	v_add_u32_e32 v40, 0xc0, v1
	v_lshrrev_b32_e32 v40, 5, v40
	v_add_lshl_u32 v72, v40, v1, 3
	v_or_b32_e32 v40, 0x100, v1
	;; [unrolled: 6-line block ×7, first 2 shown]
	v_lshrrev_b32_e32 v40, 5, v40
	v_add_lshl_u32 v83, v40, v1, 3
	v_add_u32_e32 v40, 0x3c0, v1
	v_lshrrev_b32_e32 v40, 5, v40
	v_add_lshl_u32 v84, v40, v1, 3
	s_lshr_b32 s2, s3, 16
	v_bfe_u32 v1, v0, 10, 10
	v_bfe_u32 v0, v0, 20, 10
	s_and_b32 s3, s3, 0xffff
	v_mad_u32_u24 v0, v0, s2, v1
	v_mad_u64_u32 v[0:1], s[2:3], v0, s3, v[38:39]
	v_lshrrev_b32_e32 v86, 6, v0
	v_and_b32_e32 v0, 15, v36
	v_cmp_eq_u32_e64 s[2:3], 0, v0
	v_cmp_lt_u32_e64 s[4:5], 1, v0
	v_cmp_lt_u32_e64 s[6:7], 3, v0
	v_cmp_lt_u32_e64 s[8:9], 7, v0
	v_and_b32_e32 v0, 16, v36
	v_cmp_eq_u32_e64 s[10:11], 0, v0
	v_min_u32_e32 v0, 0x100, v39
	v_or_b32_e32 v0, 63, v0
	v_cmp_eq_u32_e64 s[14:15], v0, v38
	v_add_u32_e32 v0, -1, v36
	v_and_b32_e32 v39, 64, v36
	v_cmp_lt_i32_e32 vcc, v0, v39
	v_lshlrev_b32_e32 v1, 2, v38
	v_cmp_lt_u32_e64 s[12:13], 31, v36
	v_cndmask_b32_e32 v0, v0, v36, vcc
	v_lshlrev_b32_e32 v88, 2, v0
	v_cmp_eq_u32_e64 s[20:21], 0, v36
	v_lshrrev_b32_e32 v0, 4, v38
	v_and_b32_e32 v36, 7, v36
	s_movk_i32 s0, 0x140
	v_and_b32_e32 v89, 28, v0
	v_mul_i32_i24_e32 v0, -12, v38
	v_cmp_eq_u32_e64 s[26:27], 0, v36
	v_cmp_lt_u32_e64 s[28:29], 1, v36
	v_cmp_lt_u32_e64 s[30:31], 3, v36
	v_lshrrev_b32_e32 v36, 1, v38
	v_lshlrev_b32_e32 v92, 3, v38
	v_sub_u32_e32 v1, 0, v1
	v_cmp_gt_u32_e64 s[0:1], s0, v38
	s_mov_b32 s33, 0
	v_add_u32_e32 v85, 20, v35
	v_cmp_gt_u32_e64 s[16:17], 5, v38
	v_cmp_lt_u32_e64 s[18:19], 63, v38
	v_cmp_eq_u32_e64 s[22:23], 0, v38
	v_cmp_ne_u32_e64 s[24:25], 0, v38
	v_add_u32_e32 v90, -4, v89
	v_add_lshl_u32 v91, v36, v35, 3
	v_add_u32_e32 v87, 0xa500, v92
	v_or_b32_e32 v93, 15, v35
	v_or_b32_e32 v94, 14, v35
	;; [unrolled: 1-line block ×15, first 2 shown]
	v_add_u32_e32 v108, -8, v92
	v_add_u32_e32 v109, v35, v0
	v_mov_b32_e32 v110, 0x1400
	v_mov_b32_e32 v111, 5
	v_add_u32_e32 v112, v92, v1
	s_branch .LBB59_2
.LBB59_1:                               ;   in Loop: Header=BB59_2 Depth=1
	s_or_b64 exec, exec, s[34:35]
	s_add_i32 s33, s33, 1
	s_cmpk_lg_i32 s33, 0x64
	s_cbranch_scc0 .LBB59_85
.LBB59_2:                               ; =>This Loop Header: Depth=1
                                        ;     Child Loop BB59_6 Depth 2
	s_and_saveexec_b64 s[34:35], s[0:1]
	s_cbranch_execz .LBB59_4
; %bb.3:                                ;   in Loop: Header=BB59_2 Depth=1
	v_mov_b32_e32 v36, v37
	ds_write_b64 v87, v[36:37]
.LBB59_4:                               ;   in Loop: Header=BB59_2 Depth=1
	s_or_b64 exec, exec, s[34:35]
	s_waitcnt lgkmcnt(0)
	s_barrier
	s_waitcnt vmcnt(4)
	ds_write2_b64 v68, v[26:27], v[28:29] offset1:1
	ds_write2_b64 v68, v[18:19], v[20:21] offset0:2 offset1:3
	ds_write2_b64 v68, v[10:11], v[12:13] offset0:4 offset1:5
	;; [unrolled: 1-line block ×3, first 2 shown]
	s_waitcnt vmcnt(0)
	ds_write2_b64 v68, v[30:31], v[32:33] offset0:8 offset1:9
	ds_write2_b64 v68, v[22:23], v[24:25] offset0:10 offset1:11
	;; [unrolled: 1-line block ×4, first 2 shown]
	; wave barrier
	ds_read_b64 v[32:33], v69
	ds_read_b64 v[38:39], v70 offset:512
	ds_read_b64 v[40:41], v71 offset:1024
	;; [unrolled: 1-line block ×15, first 2 shown]
	s_mov_b64 s[36:37], 0
	s_waitcnt lgkmcnt(0)
	s_barrier
	s_waitcnt lgkmcnt(0)
	; wave barrier
	s_barrier
	s_branch .LBB59_6
.LBB59_5:                               ;   in Loop: Header=BB59_6 Depth=2
	v_lshrrev_b32_e32 v32, 2, v138
	v_and_b32_e32 v32, 0x3ffffff8, v32
	v_lshl_add_u32 v32, v138, 3, v32
	s_barrier
	ds_write_b64 v32, v[30:31]
	v_lshrrev_b32_e32 v32, 2, v137
	v_and_b32_e32 v32, 0x3ffffff8, v32
	v_lshl_add_u32 v32, v137, 3, v32
	ds_write_b64 v32, v[28:29]
	v_lshrrev_b32_e32 v32, 2, v136
	v_and_b32_e32 v32, 0x3ffffff8, v32
	v_lshl_add_u32 v32, v136, 3, v32
	;; [unrolled: 4-line block ×15, first 2 shown]
	ds_write_b64 v32, v[0:1]
	s_waitcnt lgkmcnt(0)
	s_barrier
	ds_read_b64 v[32:33], v69
	ds_read_b64 v[38:39], v70 offset:512
	ds_read_b64 v[40:41], v71 offset:1024
	;; [unrolled: 1-line block ×15, first 2 shown]
	s_add_u32 s36, s36, 8
	s_addc_u32 s37, s37, 0
	s_waitcnt lgkmcnt(0)
	s_barrier
	s_cbranch_execz .LBB59_46
.LBB59_6:                               ;   Parent Loop BB59_2 Depth=1
                                        ; =>  This Inner Loop Header: Depth=2
	v_mov_b64_e32 v[30:31], v[32:33]
	v_lshrrev_b64 v[32:33], s36, v[30:31]
	v_and_b32_e32 v33, 0xff, v32
	v_and_b32_e32 v36, 1, v32
	v_mov_b64_e32 v[28:29], v[38:39]
	v_mad_u32_u24 v33, v33, 5, v86
	v_lshl_add_u64 v[38:39], v[36:37], 0, -1
	v_cmp_ne_u32_e32 vcc, 0, v36
	v_mov_b64_e32 v[26:27], v[40:41]
	v_lshl_add_u32 v40, v33, 2, 20
	v_xor_b32_e32 v33, vcc_hi, v39
	v_xor_b32_e32 v36, vcc_lo, v38
	v_lshlrev_b32_e32 v39, 30, v32
	v_mov_b32_e32 v38, v37
	v_cmp_gt_i64_e32 vcc, 0, v[38:39]
	v_not_b32_e32 v38, v39
	v_ashrrev_i32_e32 v38, 31, v38
	v_and_b32_e32 v33, exec_hi, v33
	v_and_b32_e32 v36, exec_lo, v36
	v_xor_b32_e32 v39, vcc_hi, v38
	v_xor_b32_e32 v38, vcc_lo, v38
	v_and_b32_e32 v33, v33, v39
	v_and_b32_e32 v36, v36, v38
	v_lshlrev_b32_e32 v39, 29, v32
	v_mov_b32_e32 v38, v37
	v_cmp_gt_i64_e32 vcc, 0, v[38:39]
	v_not_b32_e32 v38, v39
	v_ashrrev_i32_e32 v38, 31, v38
	v_xor_b32_e32 v39, vcc_hi, v38
	v_xor_b32_e32 v38, vcc_lo, v38
	v_and_b32_e32 v33, v33, v39
	v_and_b32_e32 v36, v36, v38
	v_lshlrev_b32_e32 v39, 28, v32
	v_mov_b32_e32 v38, v37
	v_cmp_gt_i64_e32 vcc, 0, v[38:39]
	v_not_b32_e32 v38, v39
	v_ashrrev_i32_e32 v38, 31, v38
	;; [unrolled: 9-line block ×5, first 2 shown]
	v_xor_b32_e32 v39, vcc_hi, v38
	v_and_b32_e32 v39, v33, v39
	v_lshlrev_b32_e32 v33, 24, v32
	v_mov_b32_e32 v32, v37
	v_xor_b32_e32 v38, vcc_lo, v38
	v_cmp_gt_i64_e32 vcc, 0, v[32:33]
	v_not_b32_e32 v32, v33
	v_ashrrev_i32_e32 v32, 31, v32
	v_and_b32_e32 v36, v36, v38
	v_xor_b32_e32 v33, vcc_hi, v32
	v_xor_b32_e32 v32, vcc_lo, v32
	v_and_b32_e32 v32, v36, v32
	v_and_b32_e32 v33, v39, v33
	v_mbcnt_lo_u32_b32 v36, v32, 0
	v_mbcnt_hi_u32_b32 v41, v33, v36
	v_cmp_eq_u32_e32 vcc, 0, v41
	v_cmp_ne_u64_e64 s[34:35], 0, v[32:33]
	v_mov_b64_e32 v[24:25], v[42:43]
	v_mov_b64_e32 v[22:23], v[44:45]
	;; [unrolled: 1-line block ×13, first 2 shown]
	s_and_b64 s[40:41], s[34:35], vcc
	ds_write2_b32 v35, v37, v37 offset0:5 offset1:6
	ds_write2_b32 v85, v37, v37 offset0:2 offset1:3
	s_waitcnt lgkmcnt(0)
	s_barrier
	s_waitcnt lgkmcnt(0)
	; wave barrier
	s_and_saveexec_b64 s[34:35], s[40:41]
	s_cbranch_execz .LBB59_8
; %bb.7:                                ;   in Loop: Header=BB59_6 Depth=2
	v_bcnt_u32_b32 v32, v32, 0
	v_bcnt_u32_b32 v32, v33, v32
	ds_write_b32 v40, v32
.LBB59_8:                               ;   in Loop: Header=BB59_6 Depth=2
	s_or_b64 exec, exec, s[34:35]
	v_lshrrev_b64 v[32:33], s36, v[28:29]
	v_mul_u32_u24_sdwa v33, v32, v111 dst_sel:DWORD dst_unused:UNUSED_PAD src0_sel:BYTE_0 src1_sel:DWORD
	v_and_b32_e32 v36, 1, v32
	v_add_lshl_u32 v33, v33, v86, 2
	v_lshl_add_u64 v[38:39], v[36:37], 0, -1
	v_cmp_ne_u32_e32 vcc, 0, v36
	; wave barrier
	v_add_u32_e32 v43, 20, v33
	ds_read_b32 v42, v33 offset:20
	v_xor_b32_e32 v33, vcc_hi, v39
	v_xor_b32_e32 v36, vcc_lo, v38
	v_lshlrev_b32_e32 v39, 30, v32
	v_mov_b32_e32 v38, v37
	v_cmp_gt_i64_e32 vcc, 0, v[38:39]
	v_not_b32_e32 v38, v39
	v_ashrrev_i32_e32 v38, 31, v38
	v_and_b32_e32 v33, exec_hi, v33
	v_and_b32_e32 v36, exec_lo, v36
	v_xor_b32_e32 v39, vcc_hi, v38
	v_xor_b32_e32 v38, vcc_lo, v38
	v_and_b32_e32 v33, v33, v39
	v_and_b32_e32 v36, v36, v38
	v_lshlrev_b32_e32 v39, 29, v32
	v_mov_b32_e32 v38, v37
	v_cmp_gt_i64_e32 vcc, 0, v[38:39]
	v_not_b32_e32 v38, v39
	v_ashrrev_i32_e32 v38, 31, v38
	v_xor_b32_e32 v39, vcc_hi, v38
	v_xor_b32_e32 v38, vcc_lo, v38
	v_and_b32_e32 v33, v33, v39
	v_and_b32_e32 v36, v36, v38
	v_lshlrev_b32_e32 v39, 28, v32
	v_mov_b32_e32 v38, v37
	v_cmp_gt_i64_e32 vcc, 0, v[38:39]
	v_not_b32_e32 v38, v39
	v_ashrrev_i32_e32 v38, 31, v38
	;; [unrolled: 9-line block ×5, first 2 shown]
	v_xor_b32_e32 v39, vcc_hi, v38
	v_and_b32_e32 v39, v33, v39
	v_lshlrev_b32_e32 v33, 24, v32
	v_mov_b32_e32 v32, v37
	v_xor_b32_e32 v38, vcc_lo, v38
	v_cmp_gt_i64_e32 vcc, 0, v[32:33]
	v_not_b32_e32 v32, v33
	v_ashrrev_i32_e32 v32, 31, v32
	v_and_b32_e32 v36, v36, v38
	v_xor_b32_e32 v33, vcc_hi, v32
	v_xor_b32_e32 v32, vcc_lo, v32
	v_and_b32_e32 v32, v36, v32
	v_and_b32_e32 v33, v39, v33
	v_mbcnt_lo_u32_b32 v36, v32, 0
	v_mbcnt_hi_u32_b32 v44, v33, v36
	v_cmp_eq_u32_e32 vcc, 0, v44
	v_cmp_ne_u64_e64 s[34:35], 0, v[32:33]
	s_and_b64 s[40:41], s[34:35], vcc
	; wave barrier
	s_and_saveexec_b64 s[34:35], s[40:41]
	s_cbranch_execz .LBB59_10
; %bb.9:                                ;   in Loop: Header=BB59_6 Depth=2
	v_bcnt_u32_b32 v32, v32, 0
	v_bcnt_u32_b32 v32, v33, v32
	s_waitcnt lgkmcnt(0)
	v_add_u32_e32 v32, v42, v32
	ds_write_b32 v43, v32
.LBB59_10:                              ;   in Loop: Header=BB59_6 Depth=2
	s_or_b64 exec, exec, s[34:35]
	v_lshrrev_b64 v[32:33], s36, v[26:27]
	v_mul_u32_u24_sdwa v33, v32, v111 dst_sel:DWORD dst_unused:UNUSED_PAD src0_sel:BYTE_0 src1_sel:DWORD
	v_and_b32_e32 v36, 1, v32
	v_add_lshl_u32 v33, v33, v86, 2
	v_lshl_add_u64 v[38:39], v[36:37], 0, -1
	v_cmp_ne_u32_e32 vcc, 0, v36
	; wave barrier
	v_add_u32_e32 v46, 20, v33
	ds_read_b32 v45, v33 offset:20
	v_xor_b32_e32 v33, vcc_hi, v39
	v_xor_b32_e32 v36, vcc_lo, v38
	v_lshlrev_b32_e32 v39, 30, v32
	v_mov_b32_e32 v38, v37
	v_cmp_gt_i64_e32 vcc, 0, v[38:39]
	v_not_b32_e32 v38, v39
	v_ashrrev_i32_e32 v38, 31, v38
	v_and_b32_e32 v33, exec_hi, v33
	v_and_b32_e32 v36, exec_lo, v36
	v_xor_b32_e32 v39, vcc_hi, v38
	v_xor_b32_e32 v38, vcc_lo, v38
	v_and_b32_e32 v33, v33, v39
	v_and_b32_e32 v36, v36, v38
	v_lshlrev_b32_e32 v39, 29, v32
	v_mov_b32_e32 v38, v37
	v_cmp_gt_i64_e32 vcc, 0, v[38:39]
	v_not_b32_e32 v38, v39
	v_ashrrev_i32_e32 v38, 31, v38
	v_xor_b32_e32 v39, vcc_hi, v38
	v_xor_b32_e32 v38, vcc_lo, v38
	v_and_b32_e32 v33, v33, v39
	v_and_b32_e32 v36, v36, v38
	v_lshlrev_b32_e32 v39, 28, v32
	v_mov_b32_e32 v38, v37
	v_cmp_gt_i64_e32 vcc, 0, v[38:39]
	v_not_b32_e32 v38, v39
	v_ashrrev_i32_e32 v38, 31, v38
	;; [unrolled: 9-line block ×5, first 2 shown]
	v_xor_b32_e32 v39, vcc_hi, v38
	v_and_b32_e32 v39, v33, v39
	v_lshlrev_b32_e32 v33, 24, v32
	v_mov_b32_e32 v32, v37
	v_xor_b32_e32 v38, vcc_lo, v38
	v_cmp_gt_i64_e32 vcc, 0, v[32:33]
	v_not_b32_e32 v32, v33
	v_ashrrev_i32_e32 v32, 31, v32
	v_and_b32_e32 v36, v36, v38
	v_xor_b32_e32 v33, vcc_hi, v32
	v_xor_b32_e32 v32, vcc_lo, v32
	v_and_b32_e32 v32, v36, v32
	v_and_b32_e32 v33, v39, v33
	v_mbcnt_lo_u32_b32 v36, v32, 0
	v_mbcnt_hi_u32_b32 v47, v33, v36
	v_cmp_eq_u32_e32 vcc, 0, v47
	v_cmp_ne_u64_e64 s[34:35], 0, v[32:33]
	s_and_b64 s[40:41], s[34:35], vcc
	; wave barrier
	s_and_saveexec_b64 s[34:35], s[40:41]
	s_cbranch_execz .LBB59_12
; %bb.11:                               ;   in Loop: Header=BB59_6 Depth=2
	v_bcnt_u32_b32 v32, v32, 0
	v_bcnt_u32_b32 v32, v33, v32
	s_waitcnt lgkmcnt(0)
	v_add_u32_e32 v32, v45, v32
	ds_write_b32 v46, v32
.LBB59_12:                              ;   in Loop: Header=BB59_6 Depth=2
	s_or_b64 exec, exec, s[34:35]
	v_lshrrev_b64 v[32:33], s36, v[24:25]
	v_mul_u32_u24_sdwa v33, v32, v111 dst_sel:DWORD dst_unused:UNUSED_PAD src0_sel:BYTE_0 src1_sel:DWORD
	v_and_b32_e32 v36, 1, v32
	v_add_lshl_u32 v33, v33, v86, 2
	v_lshl_add_u64 v[38:39], v[36:37], 0, -1
	v_cmp_ne_u32_e32 vcc, 0, v36
	; wave barrier
	v_add_u32_e32 v49, 20, v33
	ds_read_b32 v48, v33 offset:20
	v_xor_b32_e32 v33, vcc_hi, v39
	v_xor_b32_e32 v36, vcc_lo, v38
	v_lshlrev_b32_e32 v39, 30, v32
	v_mov_b32_e32 v38, v37
	v_cmp_gt_i64_e32 vcc, 0, v[38:39]
	v_not_b32_e32 v38, v39
	v_ashrrev_i32_e32 v38, 31, v38
	v_and_b32_e32 v33, exec_hi, v33
	v_and_b32_e32 v36, exec_lo, v36
	v_xor_b32_e32 v39, vcc_hi, v38
	v_xor_b32_e32 v38, vcc_lo, v38
	v_and_b32_e32 v33, v33, v39
	v_and_b32_e32 v36, v36, v38
	v_lshlrev_b32_e32 v39, 29, v32
	v_mov_b32_e32 v38, v37
	v_cmp_gt_i64_e32 vcc, 0, v[38:39]
	v_not_b32_e32 v38, v39
	v_ashrrev_i32_e32 v38, 31, v38
	v_xor_b32_e32 v39, vcc_hi, v38
	v_xor_b32_e32 v38, vcc_lo, v38
	v_and_b32_e32 v33, v33, v39
	v_and_b32_e32 v36, v36, v38
	v_lshlrev_b32_e32 v39, 28, v32
	v_mov_b32_e32 v38, v37
	v_cmp_gt_i64_e32 vcc, 0, v[38:39]
	v_not_b32_e32 v38, v39
	v_ashrrev_i32_e32 v38, 31, v38
	;; [unrolled: 9-line block ×5, first 2 shown]
	v_xor_b32_e32 v39, vcc_hi, v38
	v_and_b32_e32 v39, v33, v39
	v_lshlrev_b32_e32 v33, 24, v32
	v_mov_b32_e32 v32, v37
	v_xor_b32_e32 v38, vcc_lo, v38
	v_cmp_gt_i64_e32 vcc, 0, v[32:33]
	v_not_b32_e32 v32, v33
	v_ashrrev_i32_e32 v32, 31, v32
	v_and_b32_e32 v36, v36, v38
	v_xor_b32_e32 v33, vcc_hi, v32
	v_xor_b32_e32 v32, vcc_lo, v32
	v_and_b32_e32 v32, v36, v32
	v_and_b32_e32 v33, v39, v33
	v_mbcnt_lo_u32_b32 v36, v32, 0
	v_mbcnt_hi_u32_b32 v50, v33, v36
	v_cmp_eq_u32_e32 vcc, 0, v50
	v_cmp_ne_u64_e64 s[34:35], 0, v[32:33]
	s_and_b64 s[40:41], s[34:35], vcc
	; wave barrier
	s_and_saveexec_b64 s[34:35], s[40:41]
	s_cbranch_execz .LBB59_14
; %bb.13:                               ;   in Loop: Header=BB59_6 Depth=2
	v_bcnt_u32_b32 v32, v32, 0
	v_bcnt_u32_b32 v32, v33, v32
	s_waitcnt lgkmcnt(0)
	v_add_u32_e32 v32, v48, v32
	ds_write_b32 v49, v32
.LBB59_14:                              ;   in Loop: Header=BB59_6 Depth=2
	s_or_b64 exec, exec, s[34:35]
	v_lshrrev_b64 v[32:33], s36, v[22:23]
	v_mul_u32_u24_sdwa v33, v32, v111 dst_sel:DWORD dst_unused:UNUSED_PAD src0_sel:BYTE_0 src1_sel:DWORD
	v_and_b32_e32 v36, 1, v32
	v_add_lshl_u32 v33, v33, v86, 2
	v_lshl_add_u64 v[38:39], v[36:37], 0, -1
	v_cmp_ne_u32_e32 vcc, 0, v36
	; wave barrier
	v_add_u32_e32 v52, 20, v33
	ds_read_b32 v51, v33 offset:20
	v_xor_b32_e32 v33, vcc_hi, v39
	v_xor_b32_e32 v36, vcc_lo, v38
	v_lshlrev_b32_e32 v39, 30, v32
	v_mov_b32_e32 v38, v37
	v_cmp_gt_i64_e32 vcc, 0, v[38:39]
	v_not_b32_e32 v38, v39
	v_ashrrev_i32_e32 v38, 31, v38
	v_and_b32_e32 v33, exec_hi, v33
	v_and_b32_e32 v36, exec_lo, v36
	v_xor_b32_e32 v39, vcc_hi, v38
	v_xor_b32_e32 v38, vcc_lo, v38
	v_and_b32_e32 v33, v33, v39
	v_and_b32_e32 v36, v36, v38
	v_lshlrev_b32_e32 v39, 29, v32
	v_mov_b32_e32 v38, v37
	v_cmp_gt_i64_e32 vcc, 0, v[38:39]
	v_not_b32_e32 v38, v39
	v_ashrrev_i32_e32 v38, 31, v38
	v_xor_b32_e32 v39, vcc_hi, v38
	v_xor_b32_e32 v38, vcc_lo, v38
	v_and_b32_e32 v33, v33, v39
	v_and_b32_e32 v36, v36, v38
	v_lshlrev_b32_e32 v39, 28, v32
	v_mov_b32_e32 v38, v37
	v_cmp_gt_i64_e32 vcc, 0, v[38:39]
	v_not_b32_e32 v38, v39
	v_ashrrev_i32_e32 v38, 31, v38
	;; [unrolled: 9-line block ×5, first 2 shown]
	v_xor_b32_e32 v39, vcc_hi, v38
	v_and_b32_e32 v39, v33, v39
	v_lshlrev_b32_e32 v33, 24, v32
	v_mov_b32_e32 v32, v37
	v_xor_b32_e32 v38, vcc_lo, v38
	v_cmp_gt_i64_e32 vcc, 0, v[32:33]
	v_not_b32_e32 v32, v33
	v_ashrrev_i32_e32 v32, 31, v32
	v_and_b32_e32 v36, v36, v38
	v_xor_b32_e32 v33, vcc_hi, v32
	v_xor_b32_e32 v32, vcc_lo, v32
	v_and_b32_e32 v32, v36, v32
	v_and_b32_e32 v33, v39, v33
	v_mbcnt_lo_u32_b32 v36, v32, 0
	v_mbcnt_hi_u32_b32 v53, v33, v36
	v_cmp_eq_u32_e32 vcc, 0, v53
	v_cmp_ne_u64_e64 s[34:35], 0, v[32:33]
	s_and_b64 s[40:41], s[34:35], vcc
	; wave barrier
	s_and_saveexec_b64 s[34:35], s[40:41]
	s_cbranch_execz .LBB59_16
; %bb.15:                               ;   in Loop: Header=BB59_6 Depth=2
	v_bcnt_u32_b32 v32, v32, 0
	v_bcnt_u32_b32 v32, v33, v32
	s_waitcnt lgkmcnt(0)
	v_add_u32_e32 v32, v51, v32
	ds_write_b32 v52, v32
.LBB59_16:                              ;   in Loop: Header=BB59_6 Depth=2
	s_or_b64 exec, exec, s[34:35]
	v_lshrrev_b64 v[32:33], s36, v[20:21]
	v_mul_u32_u24_sdwa v33, v32, v111 dst_sel:DWORD dst_unused:UNUSED_PAD src0_sel:BYTE_0 src1_sel:DWORD
	v_and_b32_e32 v36, 1, v32
	v_add_lshl_u32 v33, v33, v86, 2
	v_lshl_add_u64 v[38:39], v[36:37], 0, -1
	v_cmp_ne_u32_e32 vcc, 0, v36
	; wave barrier
	v_add_u32_e32 v55, 20, v33
	ds_read_b32 v54, v33 offset:20
	v_xor_b32_e32 v33, vcc_hi, v39
	v_xor_b32_e32 v36, vcc_lo, v38
	v_lshlrev_b32_e32 v39, 30, v32
	v_mov_b32_e32 v38, v37
	v_cmp_gt_i64_e32 vcc, 0, v[38:39]
	v_not_b32_e32 v38, v39
	v_ashrrev_i32_e32 v38, 31, v38
	v_and_b32_e32 v33, exec_hi, v33
	v_and_b32_e32 v36, exec_lo, v36
	v_xor_b32_e32 v39, vcc_hi, v38
	v_xor_b32_e32 v38, vcc_lo, v38
	v_and_b32_e32 v33, v33, v39
	v_and_b32_e32 v36, v36, v38
	v_lshlrev_b32_e32 v39, 29, v32
	v_mov_b32_e32 v38, v37
	v_cmp_gt_i64_e32 vcc, 0, v[38:39]
	v_not_b32_e32 v38, v39
	v_ashrrev_i32_e32 v38, 31, v38
	v_xor_b32_e32 v39, vcc_hi, v38
	v_xor_b32_e32 v38, vcc_lo, v38
	v_and_b32_e32 v33, v33, v39
	v_and_b32_e32 v36, v36, v38
	v_lshlrev_b32_e32 v39, 28, v32
	v_mov_b32_e32 v38, v37
	v_cmp_gt_i64_e32 vcc, 0, v[38:39]
	v_not_b32_e32 v38, v39
	v_ashrrev_i32_e32 v38, 31, v38
	;; [unrolled: 9-line block ×5, first 2 shown]
	v_xor_b32_e32 v39, vcc_hi, v38
	v_and_b32_e32 v39, v33, v39
	v_lshlrev_b32_e32 v33, 24, v32
	v_mov_b32_e32 v32, v37
	v_xor_b32_e32 v38, vcc_lo, v38
	v_cmp_gt_i64_e32 vcc, 0, v[32:33]
	v_not_b32_e32 v32, v33
	v_ashrrev_i32_e32 v32, 31, v32
	v_and_b32_e32 v36, v36, v38
	v_xor_b32_e32 v33, vcc_hi, v32
	v_xor_b32_e32 v32, vcc_lo, v32
	v_and_b32_e32 v32, v36, v32
	v_and_b32_e32 v33, v39, v33
	v_mbcnt_lo_u32_b32 v36, v32, 0
	v_mbcnt_hi_u32_b32 v56, v33, v36
	v_cmp_eq_u32_e32 vcc, 0, v56
	v_cmp_ne_u64_e64 s[34:35], 0, v[32:33]
	s_and_b64 s[40:41], s[34:35], vcc
	; wave barrier
	s_and_saveexec_b64 s[34:35], s[40:41]
	s_cbranch_execz .LBB59_18
; %bb.17:                               ;   in Loop: Header=BB59_6 Depth=2
	v_bcnt_u32_b32 v32, v32, 0
	v_bcnt_u32_b32 v32, v33, v32
	s_waitcnt lgkmcnt(0)
	v_add_u32_e32 v32, v54, v32
	ds_write_b32 v55, v32
.LBB59_18:                              ;   in Loop: Header=BB59_6 Depth=2
	s_or_b64 exec, exec, s[34:35]
	v_lshrrev_b64 v[32:33], s36, v[18:19]
	v_mul_u32_u24_sdwa v33, v32, v111 dst_sel:DWORD dst_unused:UNUSED_PAD src0_sel:BYTE_0 src1_sel:DWORD
	v_and_b32_e32 v36, 1, v32
	v_add_lshl_u32 v33, v33, v86, 2
	v_lshl_add_u64 v[38:39], v[36:37], 0, -1
	v_cmp_ne_u32_e32 vcc, 0, v36
	; wave barrier
	v_add_u32_e32 v58, 20, v33
	ds_read_b32 v57, v33 offset:20
	v_xor_b32_e32 v33, vcc_hi, v39
	v_xor_b32_e32 v36, vcc_lo, v38
	v_lshlrev_b32_e32 v39, 30, v32
	v_mov_b32_e32 v38, v37
	v_cmp_gt_i64_e32 vcc, 0, v[38:39]
	v_not_b32_e32 v38, v39
	v_ashrrev_i32_e32 v38, 31, v38
	v_and_b32_e32 v33, exec_hi, v33
	v_and_b32_e32 v36, exec_lo, v36
	v_xor_b32_e32 v39, vcc_hi, v38
	v_xor_b32_e32 v38, vcc_lo, v38
	v_and_b32_e32 v33, v33, v39
	v_and_b32_e32 v36, v36, v38
	v_lshlrev_b32_e32 v39, 29, v32
	v_mov_b32_e32 v38, v37
	v_cmp_gt_i64_e32 vcc, 0, v[38:39]
	v_not_b32_e32 v38, v39
	v_ashrrev_i32_e32 v38, 31, v38
	v_xor_b32_e32 v39, vcc_hi, v38
	v_xor_b32_e32 v38, vcc_lo, v38
	v_and_b32_e32 v33, v33, v39
	v_and_b32_e32 v36, v36, v38
	v_lshlrev_b32_e32 v39, 28, v32
	v_mov_b32_e32 v38, v37
	v_cmp_gt_i64_e32 vcc, 0, v[38:39]
	v_not_b32_e32 v38, v39
	v_ashrrev_i32_e32 v38, 31, v38
	;; [unrolled: 9-line block ×5, first 2 shown]
	v_xor_b32_e32 v39, vcc_hi, v38
	v_and_b32_e32 v39, v33, v39
	v_lshlrev_b32_e32 v33, 24, v32
	v_mov_b32_e32 v32, v37
	v_xor_b32_e32 v38, vcc_lo, v38
	v_cmp_gt_i64_e32 vcc, 0, v[32:33]
	v_not_b32_e32 v32, v33
	v_ashrrev_i32_e32 v32, 31, v32
	v_and_b32_e32 v36, v36, v38
	v_xor_b32_e32 v33, vcc_hi, v32
	v_xor_b32_e32 v32, vcc_lo, v32
	v_and_b32_e32 v32, v36, v32
	v_and_b32_e32 v33, v39, v33
	v_mbcnt_lo_u32_b32 v36, v32, 0
	v_mbcnt_hi_u32_b32 v59, v33, v36
	v_cmp_eq_u32_e32 vcc, 0, v59
	v_cmp_ne_u64_e64 s[34:35], 0, v[32:33]
	s_and_b64 s[40:41], s[34:35], vcc
	; wave barrier
	s_and_saveexec_b64 s[34:35], s[40:41]
	s_cbranch_execz .LBB59_20
; %bb.19:                               ;   in Loop: Header=BB59_6 Depth=2
	v_bcnt_u32_b32 v32, v32, 0
	v_bcnt_u32_b32 v32, v33, v32
	s_waitcnt lgkmcnt(0)
	v_add_u32_e32 v32, v57, v32
	ds_write_b32 v58, v32
.LBB59_20:                              ;   in Loop: Header=BB59_6 Depth=2
	s_or_b64 exec, exec, s[34:35]
	v_lshrrev_b64 v[32:33], s36, v[16:17]
	v_mul_u32_u24_sdwa v33, v32, v111 dst_sel:DWORD dst_unused:UNUSED_PAD src0_sel:BYTE_0 src1_sel:DWORD
	v_and_b32_e32 v36, 1, v32
	v_add_lshl_u32 v33, v33, v86, 2
	v_lshl_add_u64 v[38:39], v[36:37], 0, -1
	v_cmp_ne_u32_e32 vcc, 0, v36
	; wave barrier
	v_add_u32_e32 v61, 20, v33
	ds_read_b32 v60, v33 offset:20
	v_xor_b32_e32 v33, vcc_hi, v39
	v_xor_b32_e32 v36, vcc_lo, v38
	v_lshlrev_b32_e32 v39, 30, v32
	v_mov_b32_e32 v38, v37
	v_cmp_gt_i64_e32 vcc, 0, v[38:39]
	v_not_b32_e32 v38, v39
	v_ashrrev_i32_e32 v38, 31, v38
	v_and_b32_e32 v33, exec_hi, v33
	v_and_b32_e32 v36, exec_lo, v36
	v_xor_b32_e32 v39, vcc_hi, v38
	v_xor_b32_e32 v38, vcc_lo, v38
	v_and_b32_e32 v33, v33, v39
	v_and_b32_e32 v36, v36, v38
	v_lshlrev_b32_e32 v39, 29, v32
	v_mov_b32_e32 v38, v37
	v_cmp_gt_i64_e32 vcc, 0, v[38:39]
	v_not_b32_e32 v38, v39
	v_ashrrev_i32_e32 v38, 31, v38
	v_xor_b32_e32 v39, vcc_hi, v38
	v_xor_b32_e32 v38, vcc_lo, v38
	v_and_b32_e32 v33, v33, v39
	v_and_b32_e32 v36, v36, v38
	v_lshlrev_b32_e32 v39, 28, v32
	v_mov_b32_e32 v38, v37
	v_cmp_gt_i64_e32 vcc, 0, v[38:39]
	v_not_b32_e32 v38, v39
	v_ashrrev_i32_e32 v38, 31, v38
	;; [unrolled: 9-line block ×5, first 2 shown]
	v_xor_b32_e32 v39, vcc_hi, v38
	v_and_b32_e32 v39, v33, v39
	v_lshlrev_b32_e32 v33, 24, v32
	v_mov_b32_e32 v32, v37
	v_xor_b32_e32 v38, vcc_lo, v38
	v_cmp_gt_i64_e32 vcc, 0, v[32:33]
	v_not_b32_e32 v32, v33
	v_ashrrev_i32_e32 v32, 31, v32
	v_and_b32_e32 v36, v36, v38
	v_xor_b32_e32 v33, vcc_hi, v32
	v_xor_b32_e32 v32, vcc_lo, v32
	v_and_b32_e32 v32, v36, v32
	v_and_b32_e32 v33, v39, v33
	v_mbcnt_lo_u32_b32 v36, v32, 0
	v_mbcnt_hi_u32_b32 v62, v33, v36
	v_cmp_eq_u32_e32 vcc, 0, v62
	v_cmp_ne_u64_e64 s[34:35], 0, v[32:33]
	s_and_b64 s[40:41], s[34:35], vcc
	; wave barrier
	s_and_saveexec_b64 s[34:35], s[40:41]
	s_cbranch_execz .LBB59_22
; %bb.21:                               ;   in Loop: Header=BB59_6 Depth=2
	v_bcnt_u32_b32 v32, v32, 0
	v_bcnt_u32_b32 v32, v33, v32
	s_waitcnt lgkmcnt(0)
	v_add_u32_e32 v32, v60, v32
	ds_write_b32 v61, v32
.LBB59_22:                              ;   in Loop: Header=BB59_6 Depth=2
	s_or_b64 exec, exec, s[34:35]
	v_lshrrev_b64 v[32:33], s36, v[14:15]
	v_mul_u32_u24_sdwa v33, v32, v111 dst_sel:DWORD dst_unused:UNUSED_PAD src0_sel:BYTE_0 src1_sel:DWORD
	v_and_b32_e32 v36, 1, v32
	v_add_lshl_u32 v33, v33, v86, 2
	v_lshl_add_u64 v[38:39], v[36:37], 0, -1
	v_cmp_ne_u32_e32 vcc, 0, v36
	; wave barrier
	v_add_u32_e32 v64, 20, v33
	ds_read_b32 v63, v33 offset:20
	v_xor_b32_e32 v33, vcc_hi, v39
	v_xor_b32_e32 v36, vcc_lo, v38
	v_lshlrev_b32_e32 v39, 30, v32
	v_mov_b32_e32 v38, v37
	v_cmp_gt_i64_e32 vcc, 0, v[38:39]
	v_not_b32_e32 v38, v39
	v_ashrrev_i32_e32 v38, 31, v38
	v_and_b32_e32 v33, exec_hi, v33
	v_and_b32_e32 v36, exec_lo, v36
	v_xor_b32_e32 v39, vcc_hi, v38
	v_xor_b32_e32 v38, vcc_lo, v38
	v_and_b32_e32 v33, v33, v39
	v_and_b32_e32 v36, v36, v38
	v_lshlrev_b32_e32 v39, 29, v32
	v_mov_b32_e32 v38, v37
	v_cmp_gt_i64_e32 vcc, 0, v[38:39]
	v_not_b32_e32 v38, v39
	v_ashrrev_i32_e32 v38, 31, v38
	v_xor_b32_e32 v39, vcc_hi, v38
	v_xor_b32_e32 v38, vcc_lo, v38
	v_and_b32_e32 v33, v33, v39
	v_and_b32_e32 v36, v36, v38
	v_lshlrev_b32_e32 v39, 28, v32
	v_mov_b32_e32 v38, v37
	v_cmp_gt_i64_e32 vcc, 0, v[38:39]
	v_not_b32_e32 v38, v39
	v_ashrrev_i32_e32 v38, 31, v38
	;; [unrolled: 9-line block ×5, first 2 shown]
	v_xor_b32_e32 v39, vcc_hi, v38
	v_and_b32_e32 v39, v33, v39
	v_lshlrev_b32_e32 v33, 24, v32
	v_mov_b32_e32 v32, v37
	v_xor_b32_e32 v38, vcc_lo, v38
	v_cmp_gt_i64_e32 vcc, 0, v[32:33]
	v_not_b32_e32 v32, v33
	v_ashrrev_i32_e32 v32, 31, v32
	v_and_b32_e32 v36, v36, v38
	v_xor_b32_e32 v33, vcc_hi, v32
	v_xor_b32_e32 v32, vcc_lo, v32
	v_and_b32_e32 v32, v36, v32
	v_and_b32_e32 v33, v39, v33
	v_mbcnt_lo_u32_b32 v36, v32, 0
	v_mbcnt_hi_u32_b32 v65, v33, v36
	v_cmp_eq_u32_e32 vcc, 0, v65
	v_cmp_ne_u64_e64 s[34:35], 0, v[32:33]
	s_and_b64 s[40:41], s[34:35], vcc
	; wave barrier
	s_and_saveexec_b64 s[34:35], s[40:41]
	s_cbranch_execz .LBB59_24
; %bb.23:                               ;   in Loop: Header=BB59_6 Depth=2
	v_bcnt_u32_b32 v32, v32, 0
	v_bcnt_u32_b32 v32, v33, v32
	s_waitcnt lgkmcnt(0)
	v_add_u32_e32 v32, v63, v32
	ds_write_b32 v64, v32
.LBB59_24:                              ;   in Loop: Header=BB59_6 Depth=2
	s_or_b64 exec, exec, s[34:35]
	v_lshrrev_b64 v[32:33], s36, v[12:13]
	v_mul_u32_u24_sdwa v33, v32, v111 dst_sel:DWORD dst_unused:UNUSED_PAD src0_sel:BYTE_0 src1_sel:DWORD
	v_and_b32_e32 v36, 1, v32
	v_add_lshl_u32 v33, v33, v86, 2
	v_lshl_add_u64 v[38:39], v[36:37], 0, -1
	v_cmp_ne_u32_e32 vcc, 0, v36
	; wave barrier
	v_add_u32_e32 v67, 20, v33
	ds_read_b32 v66, v33 offset:20
	v_xor_b32_e32 v33, vcc_hi, v39
	v_xor_b32_e32 v36, vcc_lo, v38
	v_lshlrev_b32_e32 v39, 30, v32
	v_mov_b32_e32 v38, v37
	v_cmp_gt_i64_e32 vcc, 0, v[38:39]
	v_not_b32_e32 v38, v39
	v_ashrrev_i32_e32 v38, 31, v38
	v_and_b32_e32 v33, exec_hi, v33
	v_and_b32_e32 v36, exec_lo, v36
	v_xor_b32_e32 v39, vcc_hi, v38
	v_xor_b32_e32 v38, vcc_lo, v38
	v_and_b32_e32 v33, v33, v39
	v_and_b32_e32 v36, v36, v38
	v_lshlrev_b32_e32 v39, 29, v32
	v_mov_b32_e32 v38, v37
	v_cmp_gt_i64_e32 vcc, 0, v[38:39]
	v_not_b32_e32 v38, v39
	v_ashrrev_i32_e32 v38, 31, v38
	v_xor_b32_e32 v39, vcc_hi, v38
	v_xor_b32_e32 v38, vcc_lo, v38
	v_and_b32_e32 v33, v33, v39
	v_and_b32_e32 v36, v36, v38
	v_lshlrev_b32_e32 v39, 28, v32
	v_mov_b32_e32 v38, v37
	v_cmp_gt_i64_e32 vcc, 0, v[38:39]
	v_not_b32_e32 v38, v39
	v_ashrrev_i32_e32 v38, 31, v38
	v_xor_b32_e32 v39, vcc_hi, v38
	v_xor_b32_e32 v38, vcc_lo, v38
	v_and_b32_e32 v33, v33, v39
	v_and_b32_e32 v36, v36, v38
	v_lshlrev_b32_e32 v39, 27, v32
	v_mov_b32_e32 v38, v37
	v_cmp_gt_i64_e32 vcc, 0, v[38:39]
	v_not_b32_e32 v38, v39
	v_ashrrev_i32_e32 v38, 31, v38
	v_xor_b32_e32 v39, vcc_hi, v38
	v_xor_b32_e32 v38, vcc_lo, v38
	v_and_b32_e32 v33, v33, v39
	v_and_b32_e32 v36, v36, v38
	v_lshlrev_b32_e32 v39, 26, v32
	v_mov_b32_e32 v38, v37
	v_cmp_gt_i64_e32 vcc, 0, v[38:39]
	v_not_b32_e32 v38, v39
	v_ashrrev_i32_e32 v38, 31, v38
	v_xor_b32_e32 v39, vcc_hi, v38
	v_xor_b32_e32 v38, vcc_lo, v38
	v_and_b32_e32 v33, v33, v39
	v_and_b32_e32 v36, v36, v38
	v_lshlrev_b32_e32 v39, 25, v32
	v_mov_b32_e32 v38, v37
	v_cmp_gt_i64_e32 vcc, 0, v[38:39]
	v_not_b32_e32 v38, v39
	v_ashrrev_i32_e32 v38, 31, v38
	v_xor_b32_e32 v39, vcc_hi, v38
	v_and_b32_e32 v39, v33, v39
	v_lshlrev_b32_e32 v33, 24, v32
	v_mov_b32_e32 v32, v37
	v_xor_b32_e32 v38, vcc_lo, v38
	v_cmp_gt_i64_e32 vcc, 0, v[32:33]
	v_not_b32_e32 v32, v33
	v_ashrrev_i32_e32 v32, 31, v32
	v_and_b32_e32 v36, v36, v38
	v_xor_b32_e32 v33, vcc_hi, v32
	v_xor_b32_e32 v32, vcc_lo, v32
	v_and_b32_e32 v32, v36, v32
	v_and_b32_e32 v33, v39, v33
	v_mbcnt_lo_u32_b32 v36, v32, 0
	v_mbcnt_hi_u32_b32 v113, v33, v36
	v_cmp_eq_u32_e32 vcc, 0, v113
	v_cmp_ne_u64_e64 s[34:35], 0, v[32:33]
	s_and_b64 s[40:41], s[34:35], vcc
	; wave barrier
	s_and_saveexec_b64 s[34:35], s[40:41]
	s_cbranch_execz .LBB59_26
; %bb.25:                               ;   in Loop: Header=BB59_6 Depth=2
	v_bcnt_u32_b32 v32, v32, 0
	v_bcnt_u32_b32 v32, v33, v32
	s_waitcnt lgkmcnt(0)
	v_add_u32_e32 v32, v66, v32
	ds_write_b32 v67, v32
.LBB59_26:                              ;   in Loop: Header=BB59_6 Depth=2
	s_or_b64 exec, exec, s[34:35]
	v_lshrrev_b64 v[32:33], s36, v[10:11]
	v_mul_u32_u24_sdwa v33, v32, v111 dst_sel:DWORD dst_unused:UNUSED_PAD src0_sel:BYTE_0 src1_sel:DWORD
	v_and_b32_e32 v36, 1, v32
	v_add_lshl_u32 v33, v33, v86, 2
	v_lshl_add_u64 v[38:39], v[36:37], 0, -1
	v_cmp_ne_u32_e32 vcc, 0, v36
	; wave barrier
	v_add_u32_e32 v115, 20, v33
	ds_read_b32 v114, v33 offset:20
	v_xor_b32_e32 v33, vcc_hi, v39
	v_xor_b32_e32 v36, vcc_lo, v38
	v_lshlrev_b32_e32 v39, 30, v32
	v_mov_b32_e32 v38, v37
	v_cmp_gt_i64_e32 vcc, 0, v[38:39]
	v_not_b32_e32 v38, v39
	v_ashrrev_i32_e32 v38, 31, v38
	v_and_b32_e32 v33, exec_hi, v33
	v_and_b32_e32 v36, exec_lo, v36
	v_xor_b32_e32 v39, vcc_hi, v38
	v_xor_b32_e32 v38, vcc_lo, v38
	v_and_b32_e32 v33, v33, v39
	v_and_b32_e32 v36, v36, v38
	v_lshlrev_b32_e32 v39, 29, v32
	v_mov_b32_e32 v38, v37
	v_cmp_gt_i64_e32 vcc, 0, v[38:39]
	v_not_b32_e32 v38, v39
	v_ashrrev_i32_e32 v38, 31, v38
	v_xor_b32_e32 v39, vcc_hi, v38
	v_xor_b32_e32 v38, vcc_lo, v38
	v_and_b32_e32 v33, v33, v39
	v_and_b32_e32 v36, v36, v38
	v_lshlrev_b32_e32 v39, 28, v32
	v_mov_b32_e32 v38, v37
	v_cmp_gt_i64_e32 vcc, 0, v[38:39]
	v_not_b32_e32 v38, v39
	v_ashrrev_i32_e32 v38, 31, v38
	;; [unrolled: 9-line block ×5, first 2 shown]
	v_xor_b32_e32 v39, vcc_hi, v38
	v_and_b32_e32 v39, v33, v39
	v_lshlrev_b32_e32 v33, 24, v32
	v_mov_b32_e32 v32, v37
	v_xor_b32_e32 v38, vcc_lo, v38
	v_cmp_gt_i64_e32 vcc, 0, v[32:33]
	v_not_b32_e32 v32, v33
	v_ashrrev_i32_e32 v32, 31, v32
	v_and_b32_e32 v36, v36, v38
	v_xor_b32_e32 v33, vcc_hi, v32
	v_xor_b32_e32 v32, vcc_lo, v32
	v_and_b32_e32 v32, v36, v32
	v_and_b32_e32 v33, v39, v33
	v_mbcnt_lo_u32_b32 v36, v32, 0
	v_mbcnt_hi_u32_b32 v116, v33, v36
	v_cmp_eq_u32_e32 vcc, 0, v116
	v_cmp_ne_u64_e64 s[34:35], 0, v[32:33]
	s_and_b64 s[40:41], s[34:35], vcc
	; wave barrier
	s_and_saveexec_b64 s[34:35], s[40:41]
	s_cbranch_execz .LBB59_28
; %bb.27:                               ;   in Loop: Header=BB59_6 Depth=2
	v_bcnt_u32_b32 v32, v32, 0
	v_bcnt_u32_b32 v32, v33, v32
	s_waitcnt lgkmcnt(0)
	v_add_u32_e32 v32, v114, v32
	ds_write_b32 v115, v32
.LBB59_28:                              ;   in Loop: Header=BB59_6 Depth=2
	s_or_b64 exec, exec, s[34:35]
	v_lshrrev_b64 v[32:33], s36, v[8:9]
	v_mul_u32_u24_sdwa v33, v32, v111 dst_sel:DWORD dst_unused:UNUSED_PAD src0_sel:BYTE_0 src1_sel:DWORD
	v_and_b32_e32 v36, 1, v32
	v_add_lshl_u32 v33, v33, v86, 2
	v_lshl_add_u64 v[38:39], v[36:37], 0, -1
	v_cmp_ne_u32_e32 vcc, 0, v36
	; wave barrier
	v_add_u32_e32 v118, 20, v33
	ds_read_b32 v117, v33 offset:20
	v_xor_b32_e32 v33, vcc_hi, v39
	v_xor_b32_e32 v36, vcc_lo, v38
	v_lshlrev_b32_e32 v39, 30, v32
	v_mov_b32_e32 v38, v37
	v_cmp_gt_i64_e32 vcc, 0, v[38:39]
	v_not_b32_e32 v38, v39
	v_ashrrev_i32_e32 v38, 31, v38
	v_and_b32_e32 v33, exec_hi, v33
	v_and_b32_e32 v36, exec_lo, v36
	v_xor_b32_e32 v39, vcc_hi, v38
	v_xor_b32_e32 v38, vcc_lo, v38
	v_and_b32_e32 v33, v33, v39
	v_and_b32_e32 v36, v36, v38
	v_lshlrev_b32_e32 v39, 29, v32
	v_mov_b32_e32 v38, v37
	v_cmp_gt_i64_e32 vcc, 0, v[38:39]
	v_not_b32_e32 v38, v39
	v_ashrrev_i32_e32 v38, 31, v38
	v_xor_b32_e32 v39, vcc_hi, v38
	v_xor_b32_e32 v38, vcc_lo, v38
	v_and_b32_e32 v33, v33, v39
	v_and_b32_e32 v36, v36, v38
	v_lshlrev_b32_e32 v39, 28, v32
	v_mov_b32_e32 v38, v37
	v_cmp_gt_i64_e32 vcc, 0, v[38:39]
	v_not_b32_e32 v38, v39
	v_ashrrev_i32_e32 v38, 31, v38
	;; [unrolled: 9-line block ×5, first 2 shown]
	v_xor_b32_e32 v39, vcc_hi, v38
	v_and_b32_e32 v39, v33, v39
	v_lshlrev_b32_e32 v33, 24, v32
	v_mov_b32_e32 v32, v37
	v_xor_b32_e32 v38, vcc_lo, v38
	v_cmp_gt_i64_e32 vcc, 0, v[32:33]
	v_not_b32_e32 v32, v33
	v_ashrrev_i32_e32 v32, 31, v32
	v_and_b32_e32 v36, v36, v38
	v_xor_b32_e32 v33, vcc_hi, v32
	v_xor_b32_e32 v32, vcc_lo, v32
	v_and_b32_e32 v32, v36, v32
	v_and_b32_e32 v33, v39, v33
	v_mbcnt_lo_u32_b32 v36, v32, 0
	v_mbcnt_hi_u32_b32 v119, v33, v36
	v_cmp_eq_u32_e32 vcc, 0, v119
	v_cmp_ne_u64_e64 s[34:35], 0, v[32:33]
	s_and_b64 s[40:41], s[34:35], vcc
	; wave barrier
	s_and_saveexec_b64 s[34:35], s[40:41]
	s_cbranch_execz .LBB59_30
; %bb.29:                               ;   in Loop: Header=BB59_6 Depth=2
	v_bcnt_u32_b32 v32, v32, 0
	v_bcnt_u32_b32 v32, v33, v32
	s_waitcnt lgkmcnt(0)
	v_add_u32_e32 v32, v117, v32
	ds_write_b32 v118, v32
.LBB59_30:                              ;   in Loop: Header=BB59_6 Depth=2
	s_or_b64 exec, exec, s[34:35]
	v_lshrrev_b64 v[32:33], s36, v[6:7]
	v_mul_u32_u24_sdwa v33, v32, v111 dst_sel:DWORD dst_unused:UNUSED_PAD src0_sel:BYTE_0 src1_sel:DWORD
	v_and_b32_e32 v36, 1, v32
	v_add_lshl_u32 v33, v33, v86, 2
	v_lshl_add_u64 v[38:39], v[36:37], 0, -1
	v_cmp_ne_u32_e32 vcc, 0, v36
	; wave barrier
	v_add_u32_e32 v121, 20, v33
	ds_read_b32 v120, v33 offset:20
	v_xor_b32_e32 v33, vcc_hi, v39
	v_xor_b32_e32 v36, vcc_lo, v38
	v_lshlrev_b32_e32 v39, 30, v32
	v_mov_b32_e32 v38, v37
	v_cmp_gt_i64_e32 vcc, 0, v[38:39]
	v_not_b32_e32 v38, v39
	v_ashrrev_i32_e32 v38, 31, v38
	v_and_b32_e32 v33, exec_hi, v33
	v_and_b32_e32 v36, exec_lo, v36
	v_xor_b32_e32 v39, vcc_hi, v38
	v_xor_b32_e32 v38, vcc_lo, v38
	v_and_b32_e32 v33, v33, v39
	v_and_b32_e32 v36, v36, v38
	v_lshlrev_b32_e32 v39, 29, v32
	v_mov_b32_e32 v38, v37
	v_cmp_gt_i64_e32 vcc, 0, v[38:39]
	v_not_b32_e32 v38, v39
	v_ashrrev_i32_e32 v38, 31, v38
	v_xor_b32_e32 v39, vcc_hi, v38
	v_xor_b32_e32 v38, vcc_lo, v38
	v_and_b32_e32 v33, v33, v39
	v_and_b32_e32 v36, v36, v38
	v_lshlrev_b32_e32 v39, 28, v32
	v_mov_b32_e32 v38, v37
	v_cmp_gt_i64_e32 vcc, 0, v[38:39]
	v_not_b32_e32 v38, v39
	v_ashrrev_i32_e32 v38, 31, v38
	;; [unrolled: 9-line block ×5, first 2 shown]
	v_xor_b32_e32 v39, vcc_hi, v38
	v_and_b32_e32 v39, v33, v39
	v_lshlrev_b32_e32 v33, 24, v32
	v_mov_b32_e32 v32, v37
	v_xor_b32_e32 v38, vcc_lo, v38
	v_cmp_gt_i64_e32 vcc, 0, v[32:33]
	v_not_b32_e32 v32, v33
	v_ashrrev_i32_e32 v32, 31, v32
	v_and_b32_e32 v36, v36, v38
	v_xor_b32_e32 v33, vcc_hi, v32
	v_xor_b32_e32 v32, vcc_lo, v32
	v_and_b32_e32 v32, v36, v32
	v_and_b32_e32 v33, v39, v33
	v_mbcnt_lo_u32_b32 v36, v32, 0
	v_mbcnt_hi_u32_b32 v122, v33, v36
	v_cmp_eq_u32_e32 vcc, 0, v122
	v_cmp_ne_u64_e64 s[34:35], 0, v[32:33]
	s_and_b64 s[40:41], s[34:35], vcc
	; wave barrier
	s_and_saveexec_b64 s[34:35], s[40:41]
	s_cbranch_execz .LBB59_32
; %bb.31:                               ;   in Loop: Header=BB59_6 Depth=2
	v_bcnt_u32_b32 v32, v32, 0
	v_bcnt_u32_b32 v32, v33, v32
	s_waitcnt lgkmcnt(0)
	v_add_u32_e32 v32, v120, v32
	ds_write_b32 v121, v32
.LBB59_32:                              ;   in Loop: Header=BB59_6 Depth=2
	s_or_b64 exec, exec, s[34:35]
	v_lshrrev_b64 v[32:33], s36, v[4:5]
	v_mul_u32_u24_sdwa v33, v32, v111 dst_sel:DWORD dst_unused:UNUSED_PAD src0_sel:BYTE_0 src1_sel:DWORD
	v_and_b32_e32 v36, 1, v32
	v_add_lshl_u32 v33, v33, v86, 2
	v_lshl_add_u64 v[38:39], v[36:37], 0, -1
	v_cmp_ne_u32_e32 vcc, 0, v36
	; wave barrier
	v_add_u32_e32 v124, 20, v33
	ds_read_b32 v123, v33 offset:20
	v_xor_b32_e32 v33, vcc_hi, v39
	v_xor_b32_e32 v36, vcc_lo, v38
	v_lshlrev_b32_e32 v39, 30, v32
	v_mov_b32_e32 v38, v37
	v_cmp_gt_i64_e32 vcc, 0, v[38:39]
	v_not_b32_e32 v38, v39
	v_ashrrev_i32_e32 v38, 31, v38
	v_and_b32_e32 v33, exec_hi, v33
	v_and_b32_e32 v36, exec_lo, v36
	v_xor_b32_e32 v39, vcc_hi, v38
	v_xor_b32_e32 v38, vcc_lo, v38
	v_and_b32_e32 v33, v33, v39
	v_and_b32_e32 v36, v36, v38
	v_lshlrev_b32_e32 v39, 29, v32
	v_mov_b32_e32 v38, v37
	v_cmp_gt_i64_e32 vcc, 0, v[38:39]
	v_not_b32_e32 v38, v39
	v_ashrrev_i32_e32 v38, 31, v38
	v_xor_b32_e32 v39, vcc_hi, v38
	v_xor_b32_e32 v38, vcc_lo, v38
	v_and_b32_e32 v33, v33, v39
	v_and_b32_e32 v36, v36, v38
	v_lshlrev_b32_e32 v39, 28, v32
	v_mov_b32_e32 v38, v37
	v_cmp_gt_i64_e32 vcc, 0, v[38:39]
	v_not_b32_e32 v38, v39
	v_ashrrev_i32_e32 v38, 31, v38
	;; [unrolled: 9-line block ×5, first 2 shown]
	v_xor_b32_e32 v39, vcc_hi, v38
	v_and_b32_e32 v39, v33, v39
	v_lshlrev_b32_e32 v33, 24, v32
	v_mov_b32_e32 v32, v37
	v_xor_b32_e32 v38, vcc_lo, v38
	v_cmp_gt_i64_e32 vcc, 0, v[32:33]
	v_not_b32_e32 v32, v33
	v_ashrrev_i32_e32 v32, 31, v32
	v_and_b32_e32 v36, v36, v38
	v_xor_b32_e32 v33, vcc_hi, v32
	v_xor_b32_e32 v32, vcc_lo, v32
	v_and_b32_e32 v32, v36, v32
	v_and_b32_e32 v33, v39, v33
	v_mbcnt_lo_u32_b32 v36, v32, 0
	v_mbcnt_hi_u32_b32 v125, v33, v36
	v_cmp_eq_u32_e32 vcc, 0, v125
	v_cmp_ne_u64_e64 s[34:35], 0, v[32:33]
	s_and_b64 s[40:41], s[34:35], vcc
	; wave barrier
	s_and_saveexec_b64 s[34:35], s[40:41]
	s_cbranch_execz .LBB59_34
; %bb.33:                               ;   in Loop: Header=BB59_6 Depth=2
	v_bcnt_u32_b32 v32, v32, 0
	v_bcnt_u32_b32 v32, v33, v32
	s_waitcnt lgkmcnt(0)
	v_add_u32_e32 v32, v123, v32
	ds_write_b32 v124, v32
.LBB59_34:                              ;   in Loop: Header=BB59_6 Depth=2
	s_or_b64 exec, exec, s[34:35]
	v_lshrrev_b64 v[32:33], s36, v[2:3]
	v_mul_u32_u24_sdwa v33, v32, v111 dst_sel:DWORD dst_unused:UNUSED_PAD src0_sel:BYTE_0 src1_sel:DWORD
	v_and_b32_e32 v36, 1, v32
	v_add_lshl_u32 v33, v33, v86, 2
	v_lshl_add_u64 v[38:39], v[36:37], 0, -1
	v_cmp_ne_u32_e32 vcc, 0, v36
	; wave barrier
	v_add_u32_e32 v127, 20, v33
	ds_read_b32 v126, v33 offset:20
	v_xor_b32_e32 v33, vcc_hi, v39
	v_xor_b32_e32 v36, vcc_lo, v38
	v_lshlrev_b32_e32 v39, 30, v32
	v_mov_b32_e32 v38, v37
	v_cmp_gt_i64_e32 vcc, 0, v[38:39]
	v_not_b32_e32 v38, v39
	v_ashrrev_i32_e32 v38, 31, v38
	v_and_b32_e32 v33, exec_hi, v33
	v_and_b32_e32 v36, exec_lo, v36
	v_xor_b32_e32 v39, vcc_hi, v38
	v_xor_b32_e32 v38, vcc_lo, v38
	v_and_b32_e32 v33, v33, v39
	v_and_b32_e32 v36, v36, v38
	v_lshlrev_b32_e32 v39, 29, v32
	v_mov_b32_e32 v38, v37
	v_cmp_gt_i64_e32 vcc, 0, v[38:39]
	v_not_b32_e32 v38, v39
	v_ashrrev_i32_e32 v38, 31, v38
	v_xor_b32_e32 v39, vcc_hi, v38
	v_xor_b32_e32 v38, vcc_lo, v38
	v_and_b32_e32 v33, v33, v39
	v_and_b32_e32 v36, v36, v38
	v_lshlrev_b32_e32 v39, 28, v32
	v_mov_b32_e32 v38, v37
	v_cmp_gt_i64_e32 vcc, 0, v[38:39]
	v_not_b32_e32 v38, v39
	v_ashrrev_i32_e32 v38, 31, v38
	v_xor_b32_e32 v39, vcc_hi, v38
	v_xor_b32_e32 v38, vcc_lo, v38
	v_and_b32_e32 v33, v33, v39
	v_and_b32_e32 v36, v36, v38
	v_lshlrev_b32_e32 v39, 27, v32
	v_mov_b32_e32 v38, v37
	v_cmp_gt_i64_e32 vcc, 0, v[38:39]
	v_not_b32_e32 v38, v39
	v_ashrrev_i32_e32 v38, 31, v38
	v_xor_b32_e32 v39, vcc_hi, v38
	v_xor_b32_e32 v38, vcc_lo, v38
	v_and_b32_e32 v33, v33, v39
	v_and_b32_e32 v36, v36, v38
	v_lshlrev_b32_e32 v39, 26, v32
	v_mov_b32_e32 v38, v37
	v_cmp_gt_i64_e32 vcc, 0, v[38:39]
	v_not_b32_e32 v38, v39
	v_ashrrev_i32_e32 v38, 31, v38
	v_xor_b32_e32 v39, vcc_hi, v38
	v_xor_b32_e32 v38, vcc_lo, v38
	v_and_b32_e32 v33, v33, v39
	v_and_b32_e32 v36, v36, v38
	v_lshlrev_b32_e32 v39, 25, v32
	v_mov_b32_e32 v38, v37
	v_cmp_gt_i64_e32 vcc, 0, v[38:39]
	v_not_b32_e32 v38, v39
	v_ashrrev_i32_e32 v38, 31, v38
	v_xor_b32_e32 v39, vcc_hi, v38
	v_and_b32_e32 v39, v33, v39
	v_lshlrev_b32_e32 v33, 24, v32
	v_mov_b32_e32 v32, v37
	v_xor_b32_e32 v38, vcc_lo, v38
	v_cmp_gt_i64_e32 vcc, 0, v[32:33]
	v_not_b32_e32 v32, v33
	v_ashrrev_i32_e32 v32, 31, v32
	v_and_b32_e32 v36, v36, v38
	v_xor_b32_e32 v33, vcc_hi, v32
	v_xor_b32_e32 v32, vcc_lo, v32
	v_and_b32_e32 v32, v36, v32
	v_and_b32_e32 v33, v39, v33
	v_mbcnt_lo_u32_b32 v36, v32, 0
	v_mbcnt_hi_u32_b32 v128, v33, v36
	v_cmp_eq_u32_e32 vcc, 0, v128
	v_cmp_ne_u64_e64 s[34:35], 0, v[32:33]
	s_and_b64 s[40:41], s[34:35], vcc
	; wave barrier
	s_and_saveexec_b64 s[34:35], s[40:41]
	s_cbranch_execz .LBB59_36
; %bb.35:                               ;   in Loop: Header=BB59_6 Depth=2
	v_bcnt_u32_b32 v32, v32, 0
	v_bcnt_u32_b32 v32, v33, v32
	s_waitcnt lgkmcnt(0)
	v_add_u32_e32 v32, v126, v32
	ds_write_b32 v127, v32
.LBB59_36:                              ;   in Loop: Header=BB59_6 Depth=2
	s_or_b64 exec, exec, s[34:35]
	v_lshrrev_b64 v[32:33], s36, v[0:1]
	v_mul_u32_u24_sdwa v33, v32, v111 dst_sel:DWORD dst_unused:UNUSED_PAD src0_sel:BYTE_0 src1_sel:DWORD
	v_and_b32_e32 v36, 1, v32
	v_add_lshl_u32 v33, v33, v86, 2
	v_lshl_add_u64 v[38:39], v[36:37], 0, -1
	v_cmp_ne_u32_e32 vcc, 0, v36
	; wave barrier
	v_add_u32_e32 v132, 20, v33
	ds_read_b32 v129, v33 offset:20
	v_xor_b32_e32 v33, vcc_hi, v39
	v_xor_b32_e32 v36, vcc_lo, v38
	v_lshlrev_b32_e32 v39, 30, v32
	v_mov_b32_e32 v38, v37
	v_cmp_gt_i64_e32 vcc, 0, v[38:39]
	v_not_b32_e32 v38, v39
	v_ashrrev_i32_e32 v38, 31, v38
	v_and_b32_e32 v33, exec_hi, v33
	v_and_b32_e32 v36, exec_lo, v36
	v_xor_b32_e32 v39, vcc_hi, v38
	v_xor_b32_e32 v38, vcc_lo, v38
	v_and_b32_e32 v33, v33, v39
	v_and_b32_e32 v36, v36, v38
	v_lshlrev_b32_e32 v39, 29, v32
	v_mov_b32_e32 v38, v37
	v_cmp_gt_i64_e32 vcc, 0, v[38:39]
	v_not_b32_e32 v38, v39
	v_ashrrev_i32_e32 v38, 31, v38
	v_xor_b32_e32 v39, vcc_hi, v38
	v_xor_b32_e32 v38, vcc_lo, v38
	v_and_b32_e32 v33, v33, v39
	v_and_b32_e32 v36, v36, v38
	v_lshlrev_b32_e32 v39, 28, v32
	v_mov_b32_e32 v38, v37
	v_cmp_gt_i64_e32 vcc, 0, v[38:39]
	v_not_b32_e32 v38, v39
	v_ashrrev_i32_e32 v38, 31, v38
	;; [unrolled: 9-line block ×5, first 2 shown]
	v_xor_b32_e32 v39, vcc_hi, v38
	v_and_b32_e32 v39, v33, v39
	v_lshlrev_b32_e32 v33, 24, v32
	v_mov_b32_e32 v32, v37
	v_xor_b32_e32 v38, vcc_lo, v38
	v_cmp_gt_i64_e32 vcc, 0, v[32:33]
	v_not_b32_e32 v32, v33
	v_ashrrev_i32_e32 v32, 31, v32
	v_and_b32_e32 v36, v36, v38
	v_xor_b32_e32 v33, vcc_hi, v32
	v_xor_b32_e32 v32, vcc_lo, v32
	v_and_b32_e32 v32, v36, v32
	v_and_b32_e32 v33, v39, v33
	v_mbcnt_lo_u32_b32 v36, v32, 0
	v_mbcnt_hi_u32_b32 v36, v33, v36
	v_cmp_eq_u32_e32 vcc, 0, v36
	v_cmp_ne_u64_e64 s[34:35], 0, v[32:33]
	s_and_b64 s[40:41], s[34:35], vcc
	; wave barrier
	s_and_saveexec_b64 s[34:35], s[40:41]
	s_cbranch_execz .LBB59_38
; %bb.37:                               ;   in Loop: Header=BB59_6 Depth=2
	v_bcnt_u32_b32 v32, v32, 0
	v_bcnt_u32_b32 v32, v33, v32
	s_waitcnt lgkmcnt(0)
	v_add_u32_e32 v32, v129, v32
	ds_write_b32 v132, v32
.LBB59_38:                              ;   in Loop: Header=BB59_6 Depth=2
	s_or_b64 exec, exec, s[34:35]
	; wave barrier
	s_waitcnt lgkmcnt(0)
	s_barrier
	ds_read2_b32 v[38:39], v35 offset0:5 offset1:6
	ds_read2_b32 v[32:33], v85 offset0:2 offset1:3
	s_waitcnt lgkmcnt(1)
	v_add_u32_e32 v130, v39, v38
	s_waitcnt lgkmcnt(0)
	v_add3_u32 v33, v130, v32, v33
	s_nop 1
	v_mov_b32_dpp v130, v33 row_shr:1 row_mask:0xf bank_mask:0xf
	v_cndmask_b32_e64 v130, v130, 0, s[2:3]
	v_add_u32_e32 v33, v130, v33
	s_nop 1
	v_mov_b32_dpp v130, v33 row_shr:2 row_mask:0xf bank_mask:0xf
	v_cndmask_b32_e64 v130, 0, v130, s[4:5]
	v_add_u32_e32 v33, v33, v130
	;; [unrolled: 4-line block ×4, first 2 shown]
	s_nop 1
	v_mov_b32_dpp v130, v33 row_bcast:15 row_mask:0xf bank_mask:0xf
	v_cndmask_b32_e64 v130, v130, 0, s[10:11]
	v_add_u32_e32 v33, v33, v130
	s_nop 1
	v_mov_b32_dpp v130, v33 row_bcast:31 row_mask:0xf bank_mask:0xf
	v_cndmask_b32_e64 v130, 0, v130, s[12:13]
	v_add_u32_e32 v33, v33, v130
	s_and_saveexec_b64 s[34:35], s[14:15]
	s_cbranch_execz .LBB59_40
; %bb.39:                               ;   in Loop: Header=BB59_6 Depth=2
	ds_write_b32 v89, v33
.LBB59_40:                              ;   in Loop: Header=BB59_6 Depth=2
	s_or_b64 exec, exec, s[34:35]
	s_waitcnt lgkmcnt(0)
	s_barrier
	s_and_saveexec_b64 s[34:35], s[16:17]
	s_cbranch_execz .LBB59_42
; %bb.41:                               ;   in Loop: Header=BB59_6 Depth=2
	ds_read_b32 v130, v109
	s_waitcnt lgkmcnt(0)
	s_nop 0
	v_mov_b32_dpp v131, v130 row_shr:1 row_mask:0xf bank_mask:0xf
	v_cndmask_b32_e64 v131, v131, 0, s[26:27]
	v_add_u32_e32 v130, v131, v130
	s_nop 1
	v_mov_b32_dpp v131, v130 row_shr:2 row_mask:0xf bank_mask:0xf
	v_cndmask_b32_e64 v131, 0, v131, s[28:29]
	v_add_u32_e32 v130, v130, v131
	;; [unrolled: 4-line block ×3, first 2 shown]
	ds_write_b32 v109, v130
.LBB59_42:                              ;   in Loop: Header=BB59_6 Depth=2
	s_or_b64 exec, exec, s[34:35]
	v_mov_b32_e32 v130, 0
	s_waitcnt lgkmcnt(0)
	s_barrier
	s_and_saveexec_b64 s[34:35], s[18:19]
	s_cbranch_execz .LBB59_44
; %bb.43:                               ;   in Loop: Header=BB59_6 Depth=2
	ds_read_b32 v130, v90
.LBB59_44:                              ;   in Loop: Header=BB59_6 Depth=2
	s_or_b64 exec, exec, s[34:35]
	s_waitcnt lgkmcnt(0)
	v_add_u32_e32 v33, v130, v33
	ds_bpermute_b32 v33, v88, v33
	s_cmp_gt_u32 s36, 55
	s_waitcnt lgkmcnt(0)
	v_cndmask_b32_e64 v33, v33, v130, s[20:21]
	v_cndmask_b32_e64 v33, v33, 0, s[22:23]
	v_add_u32_e32 v38, v33, v38
	v_add_u32_e32 v39, v38, v39
	;; [unrolled: 1-line block ×3, first 2 shown]
	ds_write2_b32 v35, v33, v38 offset0:5 offset1:6
	ds_write2_b32 v85, v39, v32 offset0:2 offset1:3
	s_waitcnt lgkmcnt(0)
	s_barrier
	ds_read_b32 v32, v40
	ds_read_b32 v33, v43
	;; [unrolled: 1-line block ×8, first 2 shown]
	s_waitcnt lgkmcnt(7)
	v_add_u32_e32 v138, v32, v41
	s_waitcnt lgkmcnt(6)
	v_add3_u32 v137, v44, v42, v33
	s_waitcnt lgkmcnt(5)
	v_add3_u32 v136, v47, v45, v38
	;; [unrolled: 2-line block ×5, first 2 shown]
	ds_read_b32 v32, v64
	ds_read_b32 v33, v67
	;; [unrolled: 1-line block ×8, first 2 shown]
	s_waitcnt lgkmcnt(9)
	v_add3_u32 v131, v59, v57, v46
	s_waitcnt lgkmcnt(8)
	v_add3_u32 v130, v62, v60, v49
	;; [unrolled: 2-line block ×10, first 2 shown]
	s_cbranch_scc0 .LBB59_5
; %bb.45:                               ;   in Loop: Header=BB59_2 Depth=1
                                        ; implicit-def: $vgpr32_vgpr33
                                        ; implicit-def: $vgpr38_vgpr39
                                        ; implicit-def: $vgpr40_vgpr41
                                        ; implicit-def: $vgpr42_vgpr43
                                        ; implicit-def: $vgpr44_vgpr45
                                        ; implicit-def: $vgpr46_vgpr47
                                        ; implicit-def: $vgpr48_vgpr49
                                        ; implicit-def: $vgpr50_vgpr51
                                        ; implicit-def: $vgpr52_vgpr53
                                        ; implicit-def: $vgpr54_vgpr55
                                        ; implicit-def: $vgpr56_vgpr57
                                        ; implicit-def: $vgpr58_vgpr59
                                        ; implicit-def: $vgpr60_vgpr61
                                        ; implicit-def: $vgpr62_vgpr63
                                        ; implicit-def: $vgpr64_vgpr65
                                        ; implicit-def: $vgpr66_vgpr67
                                        ; implicit-def: $sgpr36_sgpr37
.LBB59_46:                              ;   in Loop: Header=BB59_2 Depth=1
	v_lshrrev_b32_e32 v32, 2, v138
	v_and_b32_e32 v32, 0x3ffffff8, v32
	v_lshl_add_u32 v32, v138, 3, v32
	s_barrier
	ds_write_b64 v32, v[30:31]
	v_lshrrev_b32_e32 v30, 2, v137
	v_and_b32_e32 v30, 0x3ffffff8, v30
	v_lshl_add_u32 v30, v137, 3, v30
	ds_write_b64 v30, v[28:29]
	v_lshrrev_b32_e32 v28, 2, v136
	v_and_b32_e32 v28, 0x3ffffff8, v28
	v_lshl_add_u32 v28, v136, 3, v28
	;; [unrolled: 4-line block ×15, first 2 shown]
	ds_write_b64 v2, v[0:1]
	s_waitcnt lgkmcnt(0)
	s_barrier
	ds_read2_b64 v[26:29], v91 offset1:1
	ds_read2_b64 v[18:21], v91 offset0:2 offset1:3
	ds_read2_b64 v[10:13], v91 offset0:4 offset1:5
	;; [unrolled: 1-line block ×7, first 2 shown]
	s_waitcnt lgkmcnt(0)
	s_barrier
	s_and_saveexec_b64 s[34:35], s[0:1]
	s_cbranch_execz .LBB59_48
; %bb.47:                               ;   in Loop: Header=BB59_2 Depth=1
	ds_write2st64_b32 v112, v110, v110 offset0:20 offset1:25
.LBB59_48:                              ;   in Loop: Header=BB59_2 Depth=1
	s_or_b64 exec, exec, s[34:35]
	v_cmp_ne_u32_e32 vcc, v6, v8
	v_lshlrev_b32_e32 v1, 2, v6
	s_waitcnt lgkmcnt(0)
	s_barrier
	ds_write_b64 v92, v[8:9]
	s_and_saveexec_b64 s[34:35], vcc
	s_cbranch_execz .LBB59_50
; %bb.49:                               ;   in Loop: Header=BB59_2 Depth=1
	v_lshlrev_b32_e32 v0, 2, v8
	ds_write_b32 v0, v93 offset:5120
	ds_write_b32 v1, v93 offset:6400
.LBB59_50:                              ;   in Loop: Header=BB59_2 Depth=1
	s_or_b64 exec, exec, s[34:35]
	v_cmp_ne_u32_e32 vcc, v6, v16
	v_lshlrev_b32_e32 v36, 2, v16
	v_mov_b32_e32 v0, v6
	s_and_saveexec_b64 s[34:35], vcc
	s_cbranch_execz .LBB59_52
; %bb.51:                               ;   in Loop: Header=BB59_2 Depth=1
	v_mov_b32_e32 v0, v16
	ds_write_b32 v1, v94 offset:5120
	ds_write_b32 v36, v94 offset:6400
.LBB59_52:                              ;   in Loop: Header=BB59_2 Depth=1
	s_or_b64 exec, exec, s[34:35]
	v_cmp_ne_u32_e32 vcc, v0, v14
	v_lshlrev_b32_e32 v1, 2, v14
	s_and_saveexec_b64 s[34:35], vcc
	s_cbranch_execz .LBB59_54
; %bb.53:                               ;   in Loop: Header=BB59_2 Depth=1
	v_mov_b32_e32 v0, v14
	ds_write_b32 v36, v95 offset:5120
	ds_write_b32 v1, v95 offset:6400
.LBB59_54:                              ;   in Loop: Header=BB59_2 Depth=1
	s_or_b64 exec, exec, s[34:35]
	v_cmp_ne_u32_e32 vcc, v0, v24
	v_lshlrev_b32_e32 v36, 2, v24
	;; [unrolled: 10-line block ×13, first 2 shown]
	s_and_saveexec_b64 s[34:35], vcc
	s_cbranch_execz .LBB59_78
; %bb.77:                               ;   in Loop: Header=BB59_2 Depth=1
	ds_write_b32 v36, v107 offset:5120
	ds_write_b32 v0, v107 offset:6400
.LBB59_78:                              ;   in Loop: Header=BB59_2 Depth=1
	s_or_b64 exec, exec, s[34:35]
	s_waitcnt lgkmcnt(0)
	s_barrier
	s_and_saveexec_b64 s[34:35], s[24:25]
	s_cbranch_execz .LBB59_81
; %bb.79:                               ;   in Loop: Header=BB59_2 Depth=1
	ds_read_b32 v1, v108
	s_waitcnt lgkmcnt(0)
	v_cmp_ne_u32_e32 vcc, v1, v26
	s_and_b64 exec, exec, vcc
	s_cbranch_execz .LBB59_81
; %bb.80:                               ;   in Loop: Header=BB59_2 Depth=1
	ds_write_b32 v0, v35 offset:5120
	ds_read_b32 v1, v108
	s_waitcnt lgkmcnt(0)
	v_lshlrev_b32_e32 v1, 2, v1
	ds_write_b32 v1, v35 offset:6400
.LBB59_81:                              ;   in Loop: Header=BB59_2 Depth=1
	s_or_b64 exec, exec, s[34:35]
	s_waitcnt lgkmcnt(0)
	s_barrier
	s_and_saveexec_b64 s[34:35], s[22:23]
	s_cbranch_execz .LBB59_83
; %bb.82:                               ;   in Loop: Header=BB59_2 Depth=1
	ds_write_b32 v0, v37 offset:5120
.LBB59_83:                              ;   in Loop: Header=BB59_2 Depth=1
	s_or_b64 exec, exec, s[34:35]
	s_waitcnt lgkmcnt(0)
	s_barrier
	s_and_saveexec_b64 s[34:35], s[0:1]
	s_cbranch_execz .LBB59_1
; %bb.84:                               ;   in Loop: Header=BB59_2 Depth=1
	ds_read2st64_b32 v[0:1], v112 offset0:20 offset1:25
	ds_read_b64 v[38:39], v87
	s_waitcnt lgkmcnt(1)
	v_sub_u32_e32 v36, v1, v0
	s_waitcnt lgkmcnt(0)
	v_lshl_add_u64 v[0:1], v[38:39], 0, v[36:37]
	ds_write_b64 v87, v[0:1]
	s_branch .LBB59_1
.LBB59_85:
	s_and_saveexec_b64 s[2:3], s[0:1]
	s_cbranch_execz .LBB59_87
; %bb.86:
	ds_read_b64 v[0:1], v87
	v_mov_b32_e32 v2, s38
	v_mov_b32_e32 v3, s39
	;; [unrolled: 1-line block ×3, first 2 shown]
	v_lshl_add_u64 v[2:3], v[34:35], 3, v[2:3]
	s_waitcnt lgkmcnt(0)
	global_store_dwordx2 v[2:3], v[0:1], off
.LBB59_87:
	s_endpgm
	.section	.rodata,"a",@progbits
	.p2align	6, 0x0
	.amdhsa_kernel _Z6kernelI9histogramILN6hipcub23BlockHistogramAlgorithmE1EEyLj320ELj16ELj320ELj100EEvPKT0_PS4_
		.amdhsa_group_segment_fixed_size 44800
		.amdhsa_private_segment_fixed_size 0
		.amdhsa_kernarg_size 272
		.amdhsa_user_sgpr_count 2
		.amdhsa_user_sgpr_dispatch_ptr 0
		.amdhsa_user_sgpr_queue_ptr 0
		.amdhsa_user_sgpr_kernarg_segment_ptr 1
		.amdhsa_user_sgpr_dispatch_id 0
		.amdhsa_user_sgpr_kernarg_preload_length 0
		.amdhsa_user_sgpr_kernarg_preload_offset 0
		.amdhsa_user_sgpr_private_segment_size 0
		.amdhsa_uses_dynamic_stack 0
		.amdhsa_enable_private_segment 0
		.amdhsa_system_sgpr_workgroup_id_x 1
		.amdhsa_system_sgpr_workgroup_id_y 0
		.amdhsa_system_sgpr_workgroup_id_z 0
		.amdhsa_system_sgpr_workgroup_info 0
		.amdhsa_system_vgpr_workitem_id 2
		.amdhsa_next_free_vgpr 139
		.amdhsa_next_free_sgpr 42
		.amdhsa_accum_offset 140
		.amdhsa_reserve_vcc 1
		.amdhsa_float_round_mode_32 0
		.amdhsa_float_round_mode_16_64 0
		.amdhsa_float_denorm_mode_32 3
		.amdhsa_float_denorm_mode_16_64 3
		.amdhsa_dx10_clamp 1
		.amdhsa_ieee_mode 1
		.amdhsa_fp16_overflow 0
		.amdhsa_tg_split 0
		.amdhsa_exception_fp_ieee_invalid_op 0
		.amdhsa_exception_fp_denorm_src 0
		.amdhsa_exception_fp_ieee_div_zero 0
		.amdhsa_exception_fp_ieee_overflow 0
		.amdhsa_exception_fp_ieee_underflow 0
		.amdhsa_exception_fp_ieee_inexact 0
		.amdhsa_exception_int_div_zero 0
	.end_amdhsa_kernel
	.section	.text._Z6kernelI9histogramILN6hipcub23BlockHistogramAlgorithmE1EEyLj320ELj16ELj320ELj100EEvPKT0_PS4_,"axG",@progbits,_Z6kernelI9histogramILN6hipcub23BlockHistogramAlgorithmE1EEyLj320ELj16ELj320ELj100EEvPKT0_PS4_,comdat
.Lfunc_end59:
	.size	_Z6kernelI9histogramILN6hipcub23BlockHistogramAlgorithmE1EEyLj320ELj16ELj320ELj100EEvPKT0_PS4_, .Lfunc_end59-_Z6kernelI9histogramILN6hipcub23BlockHistogramAlgorithmE1EEyLj320ELj16ELj320ELj100EEvPKT0_PS4_
                                        ; -- End function
	.section	.AMDGPU.csdata,"",@progbits
; Kernel info:
; codeLenInByte = 10296
; NumSgprs: 48
; NumVgprs: 139
; NumAgprs: 0
; TotalNumVgprs: 139
; ScratchSize: 0
; MemoryBound: 0
; FloatMode: 240
; IeeeMode: 1
; LDSByteSize: 44800 bytes/workgroup (compile time only)
; SGPRBlocks: 5
; VGPRBlocks: 17
; NumSGPRsForWavesPerEU: 48
; NumVGPRsForWavesPerEU: 139
; AccumOffset: 140
; Occupancy: 2
; WaveLimiterHint : 0
; COMPUTE_PGM_RSRC2:SCRATCH_EN: 0
; COMPUTE_PGM_RSRC2:USER_SGPR: 2
; COMPUTE_PGM_RSRC2:TRAP_HANDLER: 0
; COMPUTE_PGM_RSRC2:TGID_X_EN: 1
; COMPUTE_PGM_RSRC2:TGID_Y_EN: 0
; COMPUTE_PGM_RSRC2:TGID_Z_EN: 0
; COMPUTE_PGM_RSRC2:TIDIG_COMP_CNT: 2
; COMPUTE_PGM_RSRC3_GFX90A:ACCUM_OFFSET: 34
; COMPUTE_PGM_RSRC3_GFX90A:TG_SPLIT: 0
	.text
	.p2alignl 6, 3212836864
	.fill 256, 4, 3212836864
	.type	__hip_cuid_6c000052e6a1a6bd,@object ; @__hip_cuid_6c000052e6a1a6bd
	.section	.bss,"aw",@nobits
	.globl	__hip_cuid_6c000052e6a1a6bd
__hip_cuid_6c000052e6a1a6bd:
	.byte	0                               ; 0x0
	.size	__hip_cuid_6c000052e6a1a6bd, 1

	.ident	"AMD clang version 19.0.0git (https://github.com/RadeonOpenCompute/llvm-project roc-6.4.0 25133 c7fe45cf4b819c5991fe208aaa96edf142730f1d)"
	.section	".note.GNU-stack","",@progbits
	.addrsig
	.addrsig_sym __hip_cuid_6c000052e6a1a6bd
	.amdgpu_metadata
---
amdhsa.kernels:
  - .agpr_count:     0
    .args:
      - .address_space:  global
        .offset:         0
        .size:           8
        .value_kind:     global_buffer
      - .address_space:  global
        .offset:         8
        .size:           8
        .value_kind:     global_buffer
    .group_segment_fixed_size: 1024
    .kernarg_segment_align: 8
    .kernarg_segment_size: 16
    .language:       OpenCL C
    .language_version:
      - 2
      - 0
    .max_flat_workgroup_size: 256
    .name:           _Z6kernelI9histogramILN6hipcub23BlockHistogramAlgorithmE0EEiLj256ELj1ELj256ELj100EEvPKT0_PS4_
    .private_segment_fixed_size: 0
    .sgpr_count:     14
    .sgpr_spill_count: 0
    .symbol:         _Z6kernelI9histogramILN6hipcub23BlockHistogramAlgorithmE0EEiLj256ELj1ELj256ELj100EEvPKT0_PS4_.kd
    .uniform_work_group_size: 1
    .uses_dynamic_stack: false
    .vgpr_count:     35
    .vgpr_spill_count: 0
    .wavefront_size: 64
  - .agpr_count:     0
    .args:
      - .address_space:  global
        .offset:         0
        .size:           8
        .value_kind:     global_buffer
      - .address_space:  global
        .offset:         8
        .size:           8
        .value_kind:     global_buffer
    .group_segment_fixed_size: 1024
    .kernarg_segment_align: 8
    .kernarg_segment_size: 16
    .language:       OpenCL C
    .language_version:
      - 2
      - 0
    .max_flat_workgroup_size: 256
    .name:           _Z6kernelI9histogramILN6hipcub23BlockHistogramAlgorithmE0EEiLj256ELj2ELj256ELj100EEvPKT0_PS4_
    .private_segment_fixed_size: 0
    .sgpr_count:     48
    .sgpr_spill_count: 0
    .symbol:         _Z6kernelI9histogramILN6hipcub23BlockHistogramAlgorithmE0EEiLj256ELj2ELj256ELj100EEvPKT0_PS4_.kd
    .uniform_work_group_size: 1
    .uses_dynamic_stack: false
    .vgpr_count:     41
    .vgpr_spill_count: 0
    .wavefront_size: 64
  - .agpr_count:     0
    .args:
      - .address_space:  global
        .offset:         0
        .size:           8
        .value_kind:     global_buffer
      - .address_space:  global
        .offset:         8
        .size:           8
        .value_kind:     global_buffer
    .group_segment_fixed_size: 1024
    .kernarg_segment_align: 8
    .kernarg_segment_size: 16
    .language:       OpenCL C
    .language_version:
      - 2
      - 0
    .max_flat_workgroup_size: 256
    .name:           _Z6kernelI9histogramILN6hipcub23BlockHistogramAlgorithmE0EEiLj256ELj3ELj256ELj100EEvPKT0_PS4_
    .private_segment_fixed_size: 0
    .sgpr_count:     62
    .sgpr_spill_count: 0
    .symbol:         _Z6kernelI9histogramILN6hipcub23BlockHistogramAlgorithmE0EEiLj256ELj3ELj256ELj100EEvPKT0_PS4_.kd
    .uniform_work_group_size: 1
    .uses_dynamic_stack: false
    .vgpr_count:     58
    .vgpr_spill_count: 0
    .wavefront_size: 64
  - .agpr_count:     0
    .args:
      - .address_space:  global
        .offset:         0
        .size:           8
        .value_kind:     global_buffer
      - .address_space:  global
        .offset:         8
        .size:           8
        .value_kind:     global_buffer
    .group_segment_fixed_size: 1024
    .kernarg_segment_align: 8
    .kernarg_segment_size: 16
    .language:       OpenCL C
    .language_version:
      - 2
      - 0
    .max_flat_workgroup_size: 256
    .name:           _Z6kernelI9histogramILN6hipcub23BlockHistogramAlgorithmE0EEiLj256ELj4ELj256ELj100EEvPKT0_PS4_
    .private_segment_fixed_size: 0
    .sgpr_count:     80
    .sgpr_spill_count: 0
    .symbol:         _Z6kernelI9histogramILN6hipcub23BlockHistogramAlgorithmE0EEiLj256ELj4ELj256ELj100EEvPKT0_PS4_.kd
    .uniform_work_group_size: 1
    .uses_dynamic_stack: false
    .vgpr_count:     75
    .vgpr_spill_count: 0
    .wavefront_size: 64
  - .agpr_count:     0
    .args:
      - .address_space:  global
        .offset:         0
        .size:           8
        .value_kind:     global_buffer
      - .address_space:  global
        .offset:         8
        .size:           8
        .value_kind:     global_buffer
    .group_segment_fixed_size: 1024
    .kernarg_segment_align: 8
    .kernarg_segment_size: 16
    .language:       OpenCL C
    .language_version:
      - 2
      - 0
    .max_flat_workgroup_size: 256
    .name:           _Z6kernelI9histogramILN6hipcub23BlockHistogramAlgorithmE0EEiLj256ELj8ELj256ELj100EEvPKT0_PS4_
    .private_segment_fixed_size: 0
    .sgpr_count:     106
    .sgpr_spill_count: 39
    .symbol:         _Z6kernelI9histogramILN6hipcub23BlockHistogramAlgorithmE0EEiLj256ELj8ELj256ELj100EEvPKT0_PS4_.kd
    .uniform_work_group_size: 1
    .uses_dynamic_stack: false
    .vgpr_count:     178
    .vgpr_spill_count: 0
    .wavefront_size: 64
  - .agpr_count:     31
    .args:
      - .address_space:  global
        .offset:         0
        .size:           8
        .value_kind:     global_buffer
      - .address_space:  global
        .offset:         8
        .size:           8
        .value_kind:     global_buffer
    .group_segment_fixed_size: 1024
    .kernarg_segment_align: 8
    .kernarg_segment_size: 16
    .language:       OpenCL C
    .language_version:
      - 2
      - 0
    .max_flat_workgroup_size: 256
    .name:           _Z6kernelI9histogramILN6hipcub23BlockHistogramAlgorithmE0EEiLj256ELj16ELj256ELj100EEvPKT0_PS4_
    .private_segment_fixed_size: 0
    .sgpr_count:     106
    .sgpr_spill_count: 167
    .symbol:         _Z6kernelI9histogramILN6hipcub23BlockHistogramAlgorithmE0EEiLj256ELj16ELj256ELj100EEvPKT0_PS4_.kd
    .uniform_work_group_size: 1
    .uses_dynamic_stack: false
    .vgpr_count:     287
    .vgpr_spill_count: 0
    .wavefront_size: 64
  - .agpr_count:     0
    .args:
      - .address_space:  global
        .offset:         0
        .size:           8
        .value_kind:     global_buffer
      - .address_space:  global
        .offset:         8
        .size:           8
        .value_kind:     global_buffer
    .group_segment_fixed_size: 1280
    .kernarg_segment_align: 8
    .kernarg_segment_size: 16
    .language:       OpenCL C
    .language_version:
      - 2
      - 0
    .max_flat_workgroup_size: 320
    .name:           _Z6kernelI9histogramILN6hipcub23BlockHistogramAlgorithmE0EEiLj320ELj1ELj320ELj100EEvPKT0_PS4_
    .private_segment_fixed_size: 0
    .sgpr_count:     14
    .sgpr_spill_count: 0
    .symbol:         _Z6kernelI9histogramILN6hipcub23BlockHistogramAlgorithmE0EEiLj320ELj1ELj320ELj100EEvPKT0_PS4_.kd
    .uniform_work_group_size: 1
    .uses_dynamic_stack: false
    .vgpr_count:     39
    .vgpr_spill_count: 0
    .wavefront_size: 64
  - .agpr_count:     0
    .args:
      - .address_space:  global
        .offset:         0
        .size:           8
        .value_kind:     global_buffer
      - .address_space:  global
        .offset:         8
        .size:           8
        .value_kind:     global_buffer
    .group_segment_fixed_size: 1280
    .kernarg_segment_align: 8
    .kernarg_segment_size: 16
    .language:       OpenCL C
    .language_version:
      - 2
      - 0
    .max_flat_workgroup_size: 320
    .name:           _Z6kernelI9histogramILN6hipcub23BlockHistogramAlgorithmE0EEiLj320ELj2ELj320ELj100EEvPKT0_PS4_
    .private_segment_fixed_size: 0
    .sgpr_count:     50
    .sgpr_spill_count: 0
    .symbol:         _Z6kernelI9histogramILN6hipcub23BlockHistogramAlgorithmE0EEiLj320ELj2ELj320ELj100EEvPKT0_PS4_.kd
    .uniform_work_group_size: 1
    .uses_dynamic_stack: false
    .vgpr_count:     45
    .vgpr_spill_count: 0
    .wavefront_size: 64
  - .agpr_count:     0
    .args:
      - .address_space:  global
        .offset:         0
        .size:           8
        .value_kind:     global_buffer
      - .address_space:  global
        .offset:         8
        .size:           8
        .value_kind:     global_buffer
    .group_segment_fixed_size: 1280
    .kernarg_segment_align: 8
    .kernarg_segment_size: 16
    .language:       OpenCL C
    .language_version:
      - 2
      - 0
    .max_flat_workgroup_size: 320
    .name:           _Z6kernelI9histogramILN6hipcub23BlockHistogramAlgorithmE0EEiLj320ELj3ELj320ELj100EEvPKT0_PS4_
    .private_segment_fixed_size: 0
    .sgpr_count:     68
    .sgpr_spill_count: 0
    .symbol:         _Z6kernelI9histogramILN6hipcub23BlockHistogramAlgorithmE0EEiLj320ELj3ELj320ELj100EEvPKT0_PS4_.kd
    .uniform_work_group_size: 1
    .uses_dynamic_stack: false
    .vgpr_count:     64
    .vgpr_spill_count: 0
    .wavefront_size: 64
  - .agpr_count:     0
    .args:
      - .address_space:  global
        .offset:         0
        .size:           8
        .value_kind:     global_buffer
      - .address_space:  global
        .offset:         8
        .size:           8
        .value_kind:     global_buffer
    .group_segment_fixed_size: 1280
    .kernarg_segment_align: 8
    .kernarg_segment_size: 16
    .language:       OpenCL C
    .language_version:
      - 2
      - 0
    .max_flat_workgroup_size: 320
    .name:           _Z6kernelI9histogramILN6hipcub23BlockHistogramAlgorithmE0EEiLj320ELj4ELj320ELj100EEvPKT0_PS4_
    .private_segment_fixed_size: 0
    .sgpr_count:     86
    .sgpr_spill_count: 0
    .symbol:         _Z6kernelI9histogramILN6hipcub23BlockHistogramAlgorithmE0EEiLj320ELj4ELj320ELj100EEvPKT0_PS4_.kd
    .uniform_work_group_size: 1
    .uses_dynamic_stack: false
    .vgpr_count:     83
    .vgpr_spill_count: 0
    .wavefront_size: 64
  - .agpr_count:     0
    .args:
      - .address_space:  global
        .offset:         0
        .size:           8
        .value_kind:     global_buffer
      - .address_space:  global
        .offset:         8
        .size:           8
        .value_kind:     global_buffer
    .group_segment_fixed_size: 1280
    .kernarg_segment_align: 8
    .kernarg_segment_size: 16
    .language:       OpenCL C
    .language_version:
      - 2
      - 0
    .max_flat_workgroup_size: 320
    .name:           _Z6kernelI9histogramILN6hipcub23BlockHistogramAlgorithmE0EEiLj320ELj8ELj320ELj100EEvPKT0_PS4_
    .private_segment_fixed_size: 0
    .sgpr_count:     106
    .sgpr_spill_count: 54
    .symbol:         _Z6kernelI9histogramILN6hipcub23BlockHistogramAlgorithmE0EEiLj320ELj8ELj320ELj100EEvPKT0_PS4_.kd
    .uniform_work_group_size: 1
    .uses_dynamic_stack: false
    .vgpr_count:     210
    .vgpr_spill_count: 0
    .wavefront_size: 64
  - .agpr_count:     0
    .args:
      - .address_space:  global
        .offset:         0
        .size:           8
        .value_kind:     global_buffer
      - .address_space:  global
        .offset:         8
        .size:           8
        .value_kind:     global_buffer
    .group_segment_fixed_size: 1280
    .kernarg_segment_align: 8
    .kernarg_segment_size: 16
    .language:       OpenCL C
    .language_version:
      - 2
      - 0
    .max_flat_workgroup_size: 320
    .name:           _Z6kernelI9histogramILN6hipcub23BlockHistogramAlgorithmE0EEiLj320ELj16ELj320ELj100EEvPKT0_PS4_
    .private_segment_fixed_size: 424
    .sgpr_count:     106
    .sgpr_spill_count: 198
    .symbol:         _Z6kernelI9histogramILN6hipcub23BlockHistogramAlgorithmE0EEiLj320ELj16ELj320ELj100EEvPKT0_PS4_.kd
    .uniform_work_group_size: 1
    .uses_dynamic_stack: false
    .vgpr_count:     256
    .vgpr_spill_count: 124
    .wavefront_size: 64
  - .agpr_count:     0
    .args:
      - .address_space:  global
        .offset:         0
        .size:           8
        .value_kind:     global_buffer
      - .address_space:  global
        .offset:         8
        .size:           8
        .value_kind:     global_buffer
    .group_segment_fixed_size: 2048
    .kernarg_segment_align: 8
    .kernarg_segment_size: 16
    .language:       OpenCL C
    .language_version:
      - 2
      - 0
    .max_flat_workgroup_size: 512
    .name:           _Z6kernelI9histogramILN6hipcub23BlockHistogramAlgorithmE0EEiLj512ELj1ELj512ELj100EEvPKT0_PS4_
    .private_segment_fixed_size: 0
    .sgpr_count:     14
    .sgpr_spill_count: 0
    .symbol:         _Z6kernelI9histogramILN6hipcub23BlockHistogramAlgorithmE0EEiLj512ELj1ELj512ELj100EEvPKT0_PS4_.kd
    .uniform_work_group_size: 1
    .uses_dynamic_stack: false
    .vgpr_count:     39
    .vgpr_spill_count: 0
    .wavefront_size: 64
  - .agpr_count:     0
    .args:
      - .address_space:  global
        .offset:         0
        .size:           8
        .value_kind:     global_buffer
      - .address_space:  global
        .offset:         8
        .size:           8
        .value_kind:     global_buffer
    .group_segment_fixed_size: 2048
    .kernarg_segment_align: 8
    .kernarg_segment_size: 16
    .language:       OpenCL C
    .language_version:
      - 2
      - 0
    .max_flat_workgroup_size: 512
    .name:           _Z6kernelI9histogramILN6hipcub23BlockHistogramAlgorithmE0EEiLj512ELj2ELj512ELj100EEvPKT0_PS4_
    .private_segment_fixed_size: 0
    .sgpr_count:     52
    .sgpr_spill_count: 0
    .symbol:         _Z6kernelI9histogramILN6hipcub23BlockHistogramAlgorithmE0EEiLj512ELj2ELj512ELj100EEvPKT0_PS4_.kd
    .uniform_work_group_size: 1
    .uses_dynamic_stack: false
    .vgpr_count:     45
    .vgpr_spill_count: 0
    .wavefront_size: 64
  - .agpr_count:     0
    .args:
      - .address_space:  global
        .offset:         0
        .size:           8
        .value_kind:     global_buffer
      - .address_space:  global
        .offset:         8
        .size:           8
        .value_kind:     global_buffer
    .group_segment_fixed_size: 2048
    .kernarg_segment_align: 8
    .kernarg_segment_size: 16
    .language:       OpenCL C
    .language_version:
      - 2
      - 0
    .max_flat_workgroup_size: 512
    .name:           _Z6kernelI9histogramILN6hipcub23BlockHistogramAlgorithmE0EEiLj512ELj3ELj512ELj100EEvPKT0_PS4_
    .private_segment_fixed_size: 0
    .sgpr_count:     68
    .sgpr_spill_count: 0
    .symbol:         _Z6kernelI9histogramILN6hipcub23BlockHistogramAlgorithmE0EEiLj512ELj3ELj512ELj100EEvPKT0_PS4_.kd
    .uniform_work_group_size: 1
    .uses_dynamic_stack: false
    .vgpr_count:     64
    .vgpr_spill_count: 0
    .wavefront_size: 64
  - .agpr_count:     0
    .args:
      - .address_space:  global
        .offset:         0
        .size:           8
        .value_kind:     global_buffer
      - .address_space:  global
        .offset:         8
        .size:           8
        .value_kind:     global_buffer
    .group_segment_fixed_size: 2048
    .kernarg_segment_align: 8
    .kernarg_segment_size: 16
    .language:       OpenCL C
    .language_version:
      - 2
      - 0
    .max_flat_workgroup_size: 512
    .name:           _Z6kernelI9histogramILN6hipcub23BlockHistogramAlgorithmE0EEiLj512ELj4ELj512ELj100EEvPKT0_PS4_
    .private_segment_fixed_size: 0
    .sgpr_count:     88
    .sgpr_spill_count: 0
    .symbol:         _Z6kernelI9histogramILN6hipcub23BlockHistogramAlgorithmE0EEiLj512ELj4ELj512ELj100EEvPKT0_PS4_.kd
    .uniform_work_group_size: 1
    .uses_dynamic_stack: false
    .vgpr_count:     83
    .vgpr_spill_count: 0
    .wavefront_size: 64
  - .agpr_count:     0
    .args:
      - .address_space:  global
        .offset:         0
        .size:           8
        .value_kind:     global_buffer
      - .address_space:  global
        .offset:         8
        .size:           8
        .value_kind:     global_buffer
    .group_segment_fixed_size: 2048
    .kernarg_segment_align: 8
    .kernarg_segment_size: 16
    .language:       OpenCL C
    .language_version:
      - 2
      - 0
    .max_flat_workgroup_size: 512
    .name:           _Z6kernelI9histogramILN6hipcub23BlockHistogramAlgorithmE0EEiLj512ELj8ELj512ELj100EEvPKT0_PS4_
    .private_segment_fixed_size: 0
    .sgpr_count:     106
    .sgpr_spill_count: 55
    .symbol:         _Z6kernelI9histogramILN6hipcub23BlockHistogramAlgorithmE0EEiLj512ELj8ELj512ELj100EEvPKT0_PS4_.kd
    .uniform_work_group_size: 1
    .uses_dynamic_stack: false
    .vgpr_count:     210
    .vgpr_spill_count: 0
    .wavefront_size: 64
  - .agpr_count:     0
    .args:
      - .address_space:  global
        .offset:         0
        .size:           8
        .value_kind:     global_buffer
      - .address_space:  global
        .offset:         8
        .size:           8
        .value_kind:     global_buffer
    .group_segment_fixed_size: 2048
    .kernarg_segment_align: 8
    .kernarg_segment_size: 16
    .language:       OpenCL C
    .language_version:
      - 2
      - 0
    .max_flat_workgroup_size: 512
    .name:           _Z6kernelI9histogramILN6hipcub23BlockHistogramAlgorithmE0EEiLj512ELj16ELj512ELj100EEvPKT0_PS4_
    .private_segment_fixed_size: 420
    .sgpr_count:     106
    .sgpr_spill_count: 199
    .symbol:         _Z6kernelI9histogramILN6hipcub23BlockHistogramAlgorithmE0EEiLj512ELj16ELj512ELj100EEvPKT0_PS4_.kd
    .uniform_work_group_size: 1
    .uses_dynamic_stack: false
    .vgpr_count:     256
    .vgpr_spill_count: 120
    .wavefront_size: 64
  - .agpr_count:     0
    .args:
      - .address_space:  global
        .offset:         0
        .size:           8
        .value_kind:     global_buffer
      - .address_space:  global
        .offset:         8
        .size:           8
        .value_kind:     global_buffer
    .group_segment_fixed_size: 2048
    .kernarg_segment_align: 8
    .kernarg_segment_size: 16
    .language:       OpenCL C
    .language_version:
      - 2
      - 0
    .max_flat_workgroup_size: 256
    .name:           _Z6kernelI9histogramILN6hipcub23BlockHistogramAlgorithmE0EEyLj256ELj1ELj256ELj100EEvPKT0_PS4_
    .private_segment_fixed_size: 0
    .sgpr_count:     14
    .sgpr_spill_count: 0
    .symbol:         _Z6kernelI9histogramILN6hipcub23BlockHistogramAlgorithmE0EEyLj256ELj1ELj256ELj100EEvPKT0_PS4_.kd
    .uniform_work_group_size: 1
    .uses_dynamic_stack: false
    .vgpr_count:     32
    .vgpr_spill_count: 0
    .wavefront_size: 64
  - .agpr_count:     0
    .args:
      - .address_space:  global
        .offset:         0
        .size:           8
        .value_kind:     global_buffer
      - .address_space:  global
        .offset:         8
        .size:           8
        .value_kind:     global_buffer
    .group_segment_fixed_size: 2048
    .kernarg_segment_align: 8
    .kernarg_segment_size: 16
    .language:       OpenCL C
    .language_version:
      - 2
      - 0
    .max_flat_workgroup_size: 256
    .name:           _Z6kernelI9histogramILN6hipcub23BlockHistogramAlgorithmE0EEyLj256ELj2ELj256ELj100EEvPKT0_PS4_
    .private_segment_fixed_size: 0
    .sgpr_count:     48
    .sgpr_spill_count: 0
    .symbol:         _Z6kernelI9histogramILN6hipcub23BlockHistogramAlgorithmE0EEyLj256ELj2ELj256ELj100EEvPKT0_PS4_.kd
    .uniform_work_group_size: 1
    .uses_dynamic_stack: false
    .vgpr_count:     42
    .vgpr_spill_count: 0
    .wavefront_size: 64
  - .agpr_count:     0
    .args:
      - .address_space:  global
        .offset:         0
        .size:           8
        .value_kind:     global_buffer
      - .address_space:  global
        .offset:         8
        .size:           8
        .value_kind:     global_buffer
    .group_segment_fixed_size: 2048
    .kernarg_segment_align: 8
    .kernarg_segment_size: 16
    .language:       OpenCL C
    .language_version:
      - 2
      - 0
    .max_flat_workgroup_size: 256
    .name:           _Z6kernelI9histogramILN6hipcub23BlockHistogramAlgorithmE0EEyLj256ELj3ELj256ELj100EEvPKT0_PS4_
    .private_segment_fixed_size: 0
    .sgpr_count:     62
    .sgpr_spill_count: 0
    .symbol:         _Z6kernelI9histogramILN6hipcub23BlockHistogramAlgorithmE0EEyLj256ELj3ELj256ELj100EEvPKT0_PS4_.kd
    .uniform_work_group_size: 1
    .uses_dynamic_stack: false
    .vgpr_count:     58
    .vgpr_spill_count: 0
    .wavefront_size: 64
  - .agpr_count:     0
    .args:
      - .address_space:  global
        .offset:         0
        .size:           8
        .value_kind:     global_buffer
      - .address_space:  global
        .offset:         8
        .size:           8
        .value_kind:     global_buffer
    .group_segment_fixed_size: 2048
    .kernarg_segment_align: 8
    .kernarg_segment_size: 16
    .language:       OpenCL C
    .language_version:
      - 2
      - 0
    .max_flat_workgroup_size: 256
    .name:           _Z6kernelI9histogramILN6hipcub23BlockHistogramAlgorithmE0EEyLj256ELj4ELj256ELj100EEvPKT0_PS4_
    .private_segment_fixed_size: 0
    .sgpr_count:     80
    .sgpr_spill_count: 0
    .symbol:         _Z6kernelI9histogramILN6hipcub23BlockHistogramAlgorithmE0EEyLj256ELj4ELj256ELj100EEvPKT0_PS4_.kd
    .uniform_work_group_size: 1
    .uses_dynamic_stack: false
    .vgpr_count:     76
    .vgpr_spill_count: 0
    .wavefront_size: 64
  - .agpr_count:     0
    .args:
      - .address_space:  global
        .offset:         0
        .size:           8
        .value_kind:     global_buffer
      - .address_space:  global
        .offset:         8
        .size:           8
        .value_kind:     global_buffer
    .group_segment_fixed_size: 2048
    .kernarg_segment_align: 8
    .kernarg_segment_size: 16
    .language:       OpenCL C
    .language_version:
      - 2
      - 0
    .max_flat_workgroup_size: 256
    .name:           _Z6kernelI9histogramILN6hipcub23BlockHistogramAlgorithmE0EEyLj256ELj8ELj256ELj100EEvPKT0_PS4_
    .private_segment_fixed_size: 0
    .sgpr_count:     106
    .sgpr_spill_count: 39
    .symbol:         _Z6kernelI9histogramILN6hipcub23BlockHistogramAlgorithmE0EEyLj256ELj8ELj256ELj100EEvPKT0_PS4_.kd
    .uniform_work_group_size: 1
    .uses_dynamic_stack: false
    .vgpr_count:     158
    .vgpr_spill_count: 0
    .wavefront_size: 64
  - .agpr_count:     30
    .args:
      - .address_space:  global
        .offset:         0
        .size:           8
        .value_kind:     global_buffer
      - .address_space:  global
        .offset:         8
        .size:           8
        .value_kind:     global_buffer
    .group_segment_fixed_size: 2048
    .kernarg_segment_align: 8
    .kernarg_segment_size: 16
    .language:       OpenCL C
    .language_version:
      - 2
      - 0
    .max_flat_workgroup_size: 256
    .name:           _Z6kernelI9histogramILN6hipcub23BlockHistogramAlgorithmE0EEyLj256ELj16ELj256ELj100EEvPKT0_PS4_
    .private_segment_fixed_size: 0
    .sgpr_count:     106
    .sgpr_spill_count: 167
    .symbol:         _Z6kernelI9histogramILN6hipcub23BlockHistogramAlgorithmE0EEyLj256ELj16ELj256ELj100EEvPKT0_PS4_.kd
    .uniform_work_group_size: 1
    .uses_dynamic_stack: false
    .vgpr_count:     286
    .vgpr_spill_count: 0
    .wavefront_size: 64
  - .agpr_count:     0
    .args:
      - .address_space:  global
        .offset:         0
        .size:           8
        .value_kind:     global_buffer
      - .address_space:  global
        .offset:         8
        .size:           8
        .value_kind:     global_buffer
    .group_segment_fixed_size: 2560
    .kernarg_segment_align: 8
    .kernarg_segment_size: 16
    .language:       OpenCL C
    .language_version:
      - 2
      - 0
    .max_flat_workgroup_size: 320
    .name:           _Z6kernelI9histogramILN6hipcub23BlockHistogramAlgorithmE0EEyLj320ELj1ELj320ELj100EEvPKT0_PS4_
    .private_segment_fixed_size: 0
    .sgpr_count:     14
    .sgpr_spill_count: 0
    .symbol:         _Z6kernelI9histogramILN6hipcub23BlockHistogramAlgorithmE0EEyLj320ELj1ELj320ELj100EEvPKT0_PS4_.kd
    .uniform_work_group_size: 1
    .uses_dynamic_stack: false
    .vgpr_count:     36
    .vgpr_spill_count: 0
    .wavefront_size: 64
  - .agpr_count:     0
    .args:
      - .address_space:  global
        .offset:         0
        .size:           8
        .value_kind:     global_buffer
      - .address_space:  global
        .offset:         8
        .size:           8
        .value_kind:     global_buffer
    .group_segment_fixed_size: 2560
    .kernarg_segment_align: 8
    .kernarg_segment_size: 16
    .language:       OpenCL C
    .language_version:
      - 2
      - 0
    .max_flat_workgroup_size: 320
    .name:           _Z6kernelI9histogramILN6hipcub23BlockHistogramAlgorithmE0EEyLj320ELj2ELj320ELj100EEvPKT0_PS4_
    .private_segment_fixed_size: 0
    .sgpr_count:     50
    .sgpr_spill_count: 0
    .symbol:         _Z6kernelI9histogramILN6hipcub23BlockHistogramAlgorithmE0EEyLj320ELj2ELj320ELj100EEvPKT0_PS4_.kd
    .uniform_work_group_size: 1
    .uses_dynamic_stack: false
    .vgpr_count:     46
    .vgpr_spill_count: 0
    .wavefront_size: 64
  - .agpr_count:     0
    .args:
      - .address_space:  global
        .offset:         0
        .size:           8
        .value_kind:     global_buffer
      - .address_space:  global
        .offset:         8
        .size:           8
        .value_kind:     global_buffer
    .group_segment_fixed_size: 2560
    .kernarg_segment_align: 8
    .kernarg_segment_size: 16
    .language:       OpenCL C
    .language_version:
      - 2
      - 0
    .max_flat_workgroup_size: 320
    .name:           _Z6kernelI9histogramILN6hipcub23BlockHistogramAlgorithmE0EEyLj320ELj3ELj320ELj100EEvPKT0_PS4_
    .private_segment_fixed_size: 0
    .sgpr_count:     68
    .sgpr_spill_count: 0
    .symbol:         _Z6kernelI9histogramILN6hipcub23BlockHistogramAlgorithmE0EEyLj320ELj3ELj320ELj100EEvPKT0_PS4_.kd
    .uniform_work_group_size: 1
    .uses_dynamic_stack: false
    .vgpr_count:     64
    .vgpr_spill_count: 0
    .wavefront_size: 64
  - .agpr_count:     0
    .args:
      - .address_space:  global
        .offset:         0
        .size:           8
        .value_kind:     global_buffer
      - .address_space:  global
        .offset:         8
        .size:           8
        .value_kind:     global_buffer
    .group_segment_fixed_size: 2560
    .kernarg_segment_align: 8
    .kernarg_segment_size: 16
    .language:       OpenCL C
    .language_version:
      - 2
      - 0
    .max_flat_workgroup_size: 320
    .name:           _Z6kernelI9histogramILN6hipcub23BlockHistogramAlgorithmE0EEyLj320ELj4ELj320ELj100EEvPKT0_PS4_
    .private_segment_fixed_size: 0
    .sgpr_count:     86
    .sgpr_spill_count: 0
    .symbol:         _Z6kernelI9histogramILN6hipcub23BlockHistogramAlgorithmE0EEyLj320ELj4ELj320ELj100EEvPKT0_PS4_.kd
    .uniform_work_group_size: 1
    .uses_dynamic_stack: false
    .vgpr_count:     84
    .vgpr_spill_count: 0
    .wavefront_size: 64
  - .agpr_count:     0
    .args:
      - .address_space:  global
        .offset:         0
        .size:           8
        .value_kind:     global_buffer
      - .address_space:  global
        .offset:         8
        .size:           8
        .value_kind:     global_buffer
    .group_segment_fixed_size: 2560
    .kernarg_segment_align: 8
    .kernarg_segment_size: 16
    .language:       OpenCL C
    .language_version:
      - 2
      - 0
    .max_flat_workgroup_size: 320
    .name:           _Z6kernelI9histogramILN6hipcub23BlockHistogramAlgorithmE0EEyLj320ELj8ELj320ELj100EEvPKT0_PS4_
    .private_segment_fixed_size: 0
    .sgpr_count:     106
    .sgpr_spill_count: 54
    .symbol:         _Z6kernelI9histogramILN6hipcub23BlockHistogramAlgorithmE0EEyLj320ELj8ELj320ELj100EEvPKT0_PS4_.kd
    .uniform_work_group_size: 1
    .uses_dynamic_stack: false
    .vgpr_count:     172
    .vgpr_spill_count: 0
    .wavefront_size: 64
  - .agpr_count:     0
    .args:
      - .address_space:  global
        .offset:         0
        .size:           8
        .value_kind:     global_buffer
      - .address_space:  global
        .offset:         8
        .size:           8
        .value_kind:     global_buffer
    .group_segment_fixed_size: 2560
    .kernarg_segment_align: 8
    .kernarg_segment_size: 16
    .language:       OpenCL C
    .language_version:
      - 2
      - 0
    .max_flat_workgroup_size: 320
    .name:           _Z6kernelI9histogramILN6hipcub23BlockHistogramAlgorithmE0EEyLj320ELj16ELj320ELj100EEvPKT0_PS4_
    .private_segment_fixed_size: 536
    .sgpr_count:     106
    .sgpr_spill_count: 198
    .symbol:         _Z6kernelI9histogramILN6hipcub23BlockHistogramAlgorithmE0EEyLj320ELj16ELj320ELj100EEvPKT0_PS4_.kd
    .uniform_work_group_size: 1
    .uses_dynamic_stack: false
    .vgpr_count:     256
    .vgpr_spill_count: 133
    .wavefront_size: 64
  - .agpr_count:     0
    .args:
      - .address_space:  global
        .offset:         0
        .size:           8
        .value_kind:     global_buffer
      - .address_space:  global
        .offset:         8
        .size:           8
        .value_kind:     global_buffer
      - .offset:         16
        .size:           4
        .value_kind:     hidden_block_count_x
      - .offset:         20
        .size:           4
        .value_kind:     hidden_block_count_y
      - .offset:         24
        .size:           4
        .value_kind:     hidden_block_count_z
      - .offset:         28
        .size:           2
        .value_kind:     hidden_group_size_x
      - .offset:         30
        .size:           2
        .value_kind:     hidden_group_size_y
      - .offset:         32
        .size:           2
        .value_kind:     hidden_group_size_z
      - .offset:         34
        .size:           2
        .value_kind:     hidden_remainder_x
      - .offset:         36
        .size:           2
        .value_kind:     hidden_remainder_y
      - .offset:         38
        .size:           2
        .value_kind:     hidden_remainder_z
      - .offset:         56
        .size:           8
        .value_kind:     hidden_global_offset_x
      - .offset:         64
        .size:           8
        .value_kind:     hidden_global_offset_y
      - .offset:         72
        .size:           8
        .value_kind:     hidden_global_offset_z
      - .offset:         80
        .size:           2
        .value_kind:     hidden_grid_dims
    .group_segment_fixed_size: 5136
    .kernarg_segment_align: 8
    .kernarg_segment_size: 272
    .language:       OpenCL C
    .language_version:
      - 2
      - 0
    .max_flat_workgroup_size: 256
    .name:           _Z6kernelI9histogramILN6hipcub23BlockHistogramAlgorithmE1EEiLj256ELj1ELj256ELj100EEvPKT0_PS4_
    .private_segment_fixed_size: 0
    .sgpr_count:     46
    .sgpr_spill_count: 0
    .symbol:         _Z6kernelI9histogramILN6hipcub23BlockHistogramAlgorithmE1EEiLj256ELj1ELj256ELj100EEvPKT0_PS4_.kd
    .uniform_work_group_size: 1
    .uses_dynamic_stack: false
    .vgpr_count:     34
    .vgpr_spill_count: 0
    .wavefront_size: 64
  - .agpr_count:     0
    .args:
      - .address_space:  global
        .offset:         0
        .size:           8
        .value_kind:     global_buffer
      - .address_space:  global
        .offset:         8
        .size:           8
        .value_kind:     global_buffer
      - .offset:         16
        .size:           4
        .value_kind:     hidden_block_count_x
      - .offset:         20
        .size:           4
        .value_kind:     hidden_block_count_y
      - .offset:         24
        .size:           4
        .value_kind:     hidden_block_count_z
      - .offset:         28
        .size:           2
        .value_kind:     hidden_group_size_x
      - .offset:         30
        .size:           2
        .value_kind:     hidden_group_size_y
      - .offset:         32
        .size:           2
        .value_kind:     hidden_group_size_z
      - .offset:         34
        .size:           2
        .value_kind:     hidden_remainder_x
      - .offset:         36
        .size:           2
        .value_kind:     hidden_remainder_y
      - .offset:         38
        .size:           2
        .value_kind:     hidden_remainder_z
      - .offset:         56
        .size:           8
        .value_kind:     hidden_global_offset_x
      - .offset:         64
        .size:           8
        .value_kind:     hidden_global_offset_y
      - .offset:         72
        .size:           8
        .value_kind:     hidden_global_offset_z
      - .offset:         80
        .size:           2
        .value_kind:     hidden_grid_dims
    .group_segment_fixed_size: 5136
    .kernarg_segment_align: 8
    .kernarg_segment_size: 272
    .language:       OpenCL C
    .language_version:
      - 2
      - 0
    .max_flat_workgroup_size: 256
    .name:           _Z6kernelI9histogramILN6hipcub23BlockHistogramAlgorithmE1EEiLj256ELj2ELj256ELj100EEvPKT0_PS4_
    .private_segment_fixed_size: 0
    .sgpr_count:     50
    .sgpr_spill_count: 0
    .symbol:         _Z6kernelI9histogramILN6hipcub23BlockHistogramAlgorithmE1EEiLj256ELj2ELj256ELj100EEvPKT0_PS4_.kd
    .uniform_work_group_size: 1
    .uses_dynamic_stack: false
    .vgpr_count:     34
    .vgpr_spill_count: 0
    .wavefront_size: 64
  - .agpr_count:     0
    .args:
      - .address_space:  global
        .offset:         0
        .size:           8
        .value_kind:     global_buffer
      - .address_space:  global
        .offset:         8
        .size:           8
        .value_kind:     global_buffer
      - .offset:         16
        .size:           4
        .value_kind:     hidden_block_count_x
      - .offset:         20
        .size:           4
        .value_kind:     hidden_block_count_y
      - .offset:         24
        .size:           4
        .value_kind:     hidden_block_count_z
      - .offset:         28
        .size:           2
        .value_kind:     hidden_group_size_x
      - .offset:         30
        .size:           2
        .value_kind:     hidden_group_size_y
      - .offset:         32
        .size:           2
        .value_kind:     hidden_group_size_z
      - .offset:         34
        .size:           2
        .value_kind:     hidden_remainder_x
      - .offset:         36
        .size:           2
        .value_kind:     hidden_remainder_y
      - .offset:         38
        .size:           2
        .value_kind:     hidden_remainder_z
      - .offset:         56
        .size:           8
        .value_kind:     hidden_global_offset_x
      - .offset:         64
        .size:           8
        .value_kind:     hidden_global_offset_y
      - .offset:         72
        .size:           8
        .value_kind:     hidden_global_offset_z
      - .offset:         80
        .size:           2
        .value_kind:     hidden_grid_dims
    .group_segment_fixed_size: 5136
    .kernarg_segment_align: 8
    .kernarg_segment_size: 272
    .language:       OpenCL C
    .language_version:
      - 2
      - 0
    .max_flat_workgroup_size: 256
    .name:           _Z6kernelI9histogramILN6hipcub23BlockHistogramAlgorithmE1EEiLj256ELj3ELj256ELj100EEvPKT0_PS4_
    .private_segment_fixed_size: 0
    .sgpr_count:     46
    .sgpr_spill_count: 0
    .symbol:         _Z6kernelI9histogramILN6hipcub23BlockHistogramAlgorithmE1EEiLj256ELj3ELj256ELj100EEvPKT0_PS4_.kd
    .uniform_work_group_size: 1
    .uses_dynamic_stack: false
    .vgpr_count:     38
    .vgpr_spill_count: 0
    .wavefront_size: 64
  - .agpr_count:     0
    .args:
      - .address_space:  global
        .offset:         0
        .size:           8
        .value_kind:     global_buffer
      - .address_space:  global
        .offset:         8
        .size:           8
        .value_kind:     global_buffer
      - .offset:         16
        .size:           4
        .value_kind:     hidden_block_count_x
      - .offset:         20
        .size:           4
        .value_kind:     hidden_block_count_y
      - .offset:         24
        .size:           4
        .value_kind:     hidden_block_count_z
      - .offset:         28
        .size:           2
        .value_kind:     hidden_group_size_x
      - .offset:         30
        .size:           2
        .value_kind:     hidden_group_size_y
      - .offset:         32
        .size:           2
        .value_kind:     hidden_group_size_z
      - .offset:         34
        .size:           2
        .value_kind:     hidden_remainder_x
      - .offset:         36
        .size:           2
        .value_kind:     hidden_remainder_y
      - .offset:         38
        .size:           2
        .value_kind:     hidden_remainder_z
      - .offset:         56
        .size:           8
        .value_kind:     hidden_global_offset_x
      - .offset:         64
        .size:           8
        .value_kind:     hidden_global_offset_y
      - .offset:         72
        .size:           8
        .value_kind:     hidden_global_offset_z
      - .offset:         80
        .size:           2
        .value_kind:     hidden_grid_dims
    .group_segment_fixed_size: 5136
    .kernarg_segment_align: 8
    .kernarg_segment_size: 272
    .language:       OpenCL C
    .language_version:
      - 2
      - 0
    .max_flat_workgroup_size: 256
    .name:           _Z6kernelI9histogramILN6hipcub23BlockHistogramAlgorithmE1EEiLj256ELj4ELj256ELj100EEvPKT0_PS4_
    .private_segment_fixed_size: 0
    .sgpr_count:     54
    .sgpr_spill_count: 0
    .symbol:         _Z6kernelI9histogramILN6hipcub23BlockHistogramAlgorithmE1EEiLj256ELj4ELj256ELj100EEvPKT0_PS4_.kd
    .uniform_work_group_size: 1
    .uses_dynamic_stack: false
    .vgpr_count:     48
    .vgpr_spill_count: 0
    .wavefront_size: 64
  - .agpr_count:     0
    .args:
      - .address_space:  global
        .offset:         0
        .size:           8
        .value_kind:     global_buffer
      - .address_space:  global
        .offset:         8
        .size:           8
        .value_kind:     global_buffer
      - .offset:         16
        .size:           4
        .value_kind:     hidden_block_count_x
      - .offset:         20
        .size:           4
        .value_kind:     hidden_block_count_y
      - .offset:         24
        .size:           4
        .value_kind:     hidden_block_count_z
      - .offset:         28
        .size:           2
        .value_kind:     hidden_group_size_x
      - .offset:         30
        .size:           2
        .value_kind:     hidden_group_size_y
      - .offset:         32
        .size:           2
        .value_kind:     hidden_group_size_z
      - .offset:         34
        .size:           2
        .value_kind:     hidden_remainder_x
      - .offset:         36
        .size:           2
        .value_kind:     hidden_remainder_y
      - .offset:         38
        .size:           2
        .value_kind:     hidden_remainder_z
      - .offset:         56
        .size:           8
        .value_kind:     hidden_global_offset_x
      - .offset:         64
        .size:           8
        .value_kind:     hidden_global_offset_y
      - .offset:         72
        .size:           8
        .value_kind:     hidden_global_offset_z
      - .offset:         80
        .size:           2
        .value_kind:     hidden_grid_dims
    .group_segment_fixed_size: 9216
    .kernarg_segment_align: 8
    .kernarg_segment_size: 272
    .language:       OpenCL C
    .language_version:
      - 2
      - 0
    .max_flat_workgroup_size: 256
    .name:           _Z6kernelI9histogramILN6hipcub23BlockHistogramAlgorithmE1EEiLj256ELj8ELj256ELj100EEvPKT0_PS4_
    .private_segment_fixed_size: 0
    .sgpr_count:     50
    .sgpr_spill_count: 0
    .symbol:         _Z6kernelI9histogramILN6hipcub23BlockHistogramAlgorithmE1EEiLj256ELj8ELj256ELj100EEvPKT0_PS4_.kd
    .uniform_work_group_size: 1
    .uses_dynamic_stack: false
    .vgpr_count:     60
    .vgpr_spill_count: 0
    .wavefront_size: 64
  - .agpr_count:     0
    .args:
      - .address_space:  global
        .offset:         0
        .size:           8
        .value_kind:     global_buffer
      - .address_space:  global
        .offset:         8
        .size:           8
        .value_kind:     global_buffer
      - .offset:         16
        .size:           4
        .value_kind:     hidden_block_count_x
      - .offset:         20
        .size:           4
        .value_kind:     hidden_block_count_y
      - .offset:         24
        .size:           4
        .value_kind:     hidden_block_count_z
      - .offset:         28
        .size:           2
        .value_kind:     hidden_group_size_x
      - .offset:         30
        .size:           2
        .value_kind:     hidden_group_size_y
      - .offset:         32
        .size:           2
        .value_kind:     hidden_group_size_z
      - .offset:         34
        .size:           2
        .value_kind:     hidden_remainder_x
      - .offset:         36
        .size:           2
        .value_kind:     hidden_remainder_y
      - .offset:         38
        .size:           2
        .value_kind:     hidden_remainder_z
      - .offset:         56
        .size:           8
        .value_kind:     hidden_global_offset_x
      - .offset:         64
        .size:           8
        .value_kind:     hidden_global_offset_y
      - .offset:         72
        .size:           8
        .value_kind:     hidden_global_offset_z
      - .offset:         80
        .size:           2
        .value_kind:     hidden_grid_dims
    .group_segment_fixed_size: 17408
    .kernarg_segment_align: 8
    .kernarg_segment_size: 272
    .language:       OpenCL C
    .language_version:
      - 2
      - 0
    .max_flat_workgroup_size: 256
    .name:           _Z6kernelI9histogramILN6hipcub23BlockHistogramAlgorithmE1EEiLj256ELj16ELj256ELj100EEvPKT0_PS4_
    .private_segment_fixed_size: 0
    .sgpr_count:     48
    .sgpr_spill_count: 0
    .symbol:         _Z6kernelI9histogramILN6hipcub23BlockHistogramAlgorithmE1EEiLj256ELj16ELj256ELj100EEvPKT0_PS4_.kd
    .uniform_work_group_size: 1
    .uses_dynamic_stack: false
    .vgpr_count:     106
    .vgpr_spill_count: 0
    .wavefront_size: 64
  - .agpr_count:     0
    .args:
      - .address_space:  global
        .offset:         0
        .size:           8
        .value_kind:     global_buffer
      - .address_space:  global
        .offset:         8
        .size:           8
        .value_kind:     global_buffer
      - .offset:         16
        .size:           4
        .value_kind:     hidden_block_count_x
      - .offset:         20
        .size:           4
        .value_kind:     hidden_block_count_y
      - .offset:         24
        .size:           4
        .value_kind:     hidden_block_count_z
      - .offset:         28
        .size:           2
        .value_kind:     hidden_group_size_x
      - .offset:         30
        .size:           2
        .value_kind:     hidden_group_size_y
      - .offset:         32
        .size:           2
        .value_kind:     hidden_group_size_z
      - .offset:         34
        .size:           2
        .value_kind:     hidden_remainder_x
      - .offset:         36
        .size:           2
        .value_kind:     hidden_remainder_y
      - .offset:         38
        .size:           2
        .value_kind:     hidden_remainder_z
      - .offset:         56
        .size:           8
        .value_kind:     hidden_global_offset_x
      - .offset:         64
        .size:           8
        .value_kind:     hidden_global_offset_y
      - .offset:         72
        .size:           8
        .value_kind:     hidden_global_offset_z
      - .offset:         80
        .size:           2
        .value_kind:     hidden_grid_dims
    .group_segment_fixed_size: 6432
    .kernarg_segment_align: 8
    .kernarg_segment_size: 272
    .language:       OpenCL C
    .language_version:
      - 2
      - 0
    .max_flat_workgroup_size: 320
    .name:           _Z6kernelI9histogramILN6hipcub23BlockHistogramAlgorithmE1EEiLj320ELj1ELj320ELj100EEvPKT0_PS4_
    .private_segment_fixed_size: 0
    .sgpr_count:     46
    .sgpr_spill_count: 0
    .symbol:         _Z6kernelI9histogramILN6hipcub23BlockHistogramAlgorithmE1EEiLj320ELj1ELj320ELj100EEvPKT0_PS4_.kd
    .uniform_work_group_size: 1
    .uses_dynamic_stack: false
    .vgpr_count:     31
    .vgpr_spill_count: 0
    .wavefront_size: 64
  - .agpr_count:     0
    .args:
      - .address_space:  global
        .offset:         0
        .size:           8
        .value_kind:     global_buffer
      - .address_space:  global
        .offset:         8
        .size:           8
        .value_kind:     global_buffer
      - .offset:         16
        .size:           4
        .value_kind:     hidden_block_count_x
      - .offset:         20
        .size:           4
        .value_kind:     hidden_block_count_y
      - .offset:         24
        .size:           4
        .value_kind:     hidden_block_count_z
      - .offset:         28
        .size:           2
        .value_kind:     hidden_group_size_x
      - .offset:         30
        .size:           2
        .value_kind:     hidden_group_size_y
      - .offset:         32
        .size:           2
        .value_kind:     hidden_group_size_z
      - .offset:         34
        .size:           2
        .value_kind:     hidden_remainder_x
      - .offset:         36
        .size:           2
        .value_kind:     hidden_remainder_y
      - .offset:         38
        .size:           2
        .value_kind:     hidden_remainder_z
      - .offset:         56
        .size:           8
        .value_kind:     hidden_global_offset_x
      - .offset:         64
        .size:           8
        .value_kind:     hidden_global_offset_y
      - .offset:         72
        .size:           8
        .value_kind:     hidden_global_offset_z
      - .offset:         80
        .size:           2
        .value_kind:     hidden_grid_dims
    .group_segment_fixed_size: 6432
    .kernarg_segment_align: 8
    .kernarg_segment_size: 272
    .language:       OpenCL C
    .language_version:
      - 2
      - 0
    .max_flat_workgroup_size: 320
    .name:           _Z6kernelI9histogramILN6hipcub23BlockHistogramAlgorithmE1EEiLj320ELj2ELj320ELj100EEvPKT0_PS4_
    .private_segment_fixed_size: 0
    .sgpr_count:     50
    .sgpr_spill_count: 0
    .symbol:         _Z6kernelI9histogramILN6hipcub23BlockHistogramAlgorithmE1EEiLj320ELj2ELj320ELj100EEvPKT0_PS4_.kd
    .uniform_work_group_size: 1
    .uses_dynamic_stack: false
    .vgpr_count:     31
    .vgpr_spill_count: 0
    .wavefront_size: 64
  - .agpr_count:     0
    .args:
      - .address_space:  global
        .offset:         0
        .size:           8
        .value_kind:     global_buffer
      - .address_space:  global
        .offset:         8
        .size:           8
        .value_kind:     global_buffer
      - .offset:         16
        .size:           4
        .value_kind:     hidden_block_count_x
      - .offset:         20
        .size:           4
        .value_kind:     hidden_block_count_y
      - .offset:         24
        .size:           4
        .value_kind:     hidden_block_count_z
      - .offset:         28
        .size:           2
        .value_kind:     hidden_group_size_x
      - .offset:         30
        .size:           2
        .value_kind:     hidden_group_size_y
      - .offset:         32
        .size:           2
        .value_kind:     hidden_group_size_z
      - .offset:         34
        .size:           2
        .value_kind:     hidden_remainder_x
      - .offset:         36
        .size:           2
        .value_kind:     hidden_remainder_y
      - .offset:         38
        .size:           2
        .value_kind:     hidden_remainder_z
      - .offset:         56
        .size:           8
        .value_kind:     hidden_global_offset_x
      - .offset:         64
        .size:           8
        .value_kind:     hidden_global_offset_y
      - .offset:         72
        .size:           8
        .value_kind:     hidden_global_offset_z
      - .offset:         80
        .size:           2
        .value_kind:     hidden_grid_dims
    .group_segment_fixed_size: 6432
    .kernarg_segment_align: 8
    .kernarg_segment_size: 272
    .language:       OpenCL C
    .language_version:
      - 2
      - 0
    .max_flat_workgroup_size: 320
    .name:           _Z6kernelI9histogramILN6hipcub23BlockHistogramAlgorithmE1EEiLj320ELj3ELj320ELj100EEvPKT0_PS4_
    .private_segment_fixed_size: 0
    .sgpr_count:     48
    .sgpr_spill_count: 0
    .symbol:         _Z6kernelI9histogramILN6hipcub23BlockHistogramAlgorithmE1EEiLj320ELj3ELj320ELj100EEvPKT0_PS4_.kd
    .uniform_work_group_size: 1
    .uses_dynamic_stack: false
    .vgpr_count:     35
    .vgpr_spill_count: 0
    .wavefront_size: 64
  - .agpr_count:     0
    .args:
      - .address_space:  global
        .offset:         0
        .size:           8
        .value_kind:     global_buffer
      - .address_space:  global
        .offset:         8
        .size:           8
        .value_kind:     global_buffer
      - .offset:         16
        .size:           4
        .value_kind:     hidden_block_count_x
      - .offset:         20
        .size:           4
        .value_kind:     hidden_block_count_y
      - .offset:         24
        .size:           4
        .value_kind:     hidden_block_count_z
      - .offset:         28
        .size:           2
        .value_kind:     hidden_group_size_x
      - .offset:         30
        .size:           2
        .value_kind:     hidden_group_size_y
      - .offset:         32
        .size:           2
        .value_kind:     hidden_group_size_z
      - .offset:         34
        .size:           2
        .value_kind:     hidden_remainder_x
      - .offset:         36
        .size:           2
        .value_kind:     hidden_remainder_y
      - .offset:         38
        .size:           2
        .value_kind:     hidden_remainder_z
      - .offset:         56
        .size:           8
        .value_kind:     hidden_global_offset_x
      - .offset:         64
        .size:           8
        .value_kind:     hidden_global_offset_y
      - .offset:         72
        .size:           8
        .value_kind:     hidden_global_offset_z
      - .offset:         80
        .size:           2
        .value_kind:     hidden_grid_dims
    .group_segment_fixed_size: 6560
    .kernarg_segment_align: 8
    .kernarg_segment_size: 272
    .language:       OpenCL C
    .language_version:
      - 2
      - 0
    .max_flat_workgroup_size: 320
    .name:           _Z6kernelI9histogramILN6hipcub23BlockHistogramAlgorithmE1EEiLj320ELj4ELj320ELj100EEvPKT0_PS4_
    .private_segment_fixed_size: 0
    .sgpr_count:     54
    .sgpr_spill_count: 0
    .symbol:         _Z6kernelI9histogramILN6hipcub23BlockHistogramAlgorithmE1EEiLj320ELj4ELj320ELj100EEvPKT0_PS4_.kd
    .uniform_work_group_size: 1
    .uses_dynamic_stack: false
    .vgpr_count:     46
    .vgpr_spill_count: 0
    .wavefront_size: 64
  - .agpr_count:     0
    .args:
      - .address_space:  global
        .offset:         0
        .size:           8
        .value_kind:     global_buffer
      - .address_space:  global
        .offset:         8
        .size:           8
        .value_kind:     global_buffer
      - .offset:         16
        .size:           4
        .value_kind:     hidden_block_count_x
      - .offset:         20
        .size:           4
        .value_kind:     hidden_block_count_y
      - .offset:         24
        .size:           4
        .value_kind:     hidden_block_count_z
      - .offset:         28
        .size:           2
        .value_kind:     hidden_group_size_x
      - .offset:         30
        .size:           2
        .value_kind:     hidden_group_size_y
      - .offset:         32
        .size:           2
        .value_kind:     hidden_group_size_z
      - .offset:         34
        .size:           2
        .value_kind:     hidden_remainder_x
      - .offset:         36
        .size:           2
        .value_kind:     hidden_remainder_y
      - .offset:         38
        .size:           2
        .value_kind:     hidden_remainder_z
      - .offset:         56
        .size:           8
        .value_kind:     hidden_global_offset_x
      - .offset:         64
        .size:           8
        .value_kind:     hidden_global_offset_y
      - .offset:         72
        .size:           8
        .value_kind:     hidden_global_offset_z
      - .offset:         80
        .size:           2
        .value_kind:     hidden_grid_dims
    .group_segment_fixed_size: 11840
    .kernarg_segment_align: 8
    .kernarg_segment_size: 272
    .language:       OpenCL C
    .language_version:
      - 2
      - 0
    .max_flat_workgroup_size: 320
    .name:           _Z6kernelI9histogramILN6hipcub23BlockHistogramAlgorithmE1EEiLj320ELj8ELj320ELj100EEvPKT0_PS4_
    .private_segment_fixed_size: 0
    .sgpr_count:     48
    .sgpr_spill_count: 0
    .symbol:         _Z6kernelI9histogramILN6hipcub23BlockHistogramAlgorithmE1EEiLj320ELj8ELj320ELj100EEvPKT0_PS4_.kd
    .uniform_work_group_size: 1
    .uses_dynamic_stack: false
    .vgpr_count:     67
    .vgpr_spill_count: 0
    .wavefront_size: 64
  - .agpr_count:     0
    .args:
      - .address_space:  global
        .offset:         0
        .size:           8
        .value_kind:     global_buffer
      - .address_space:  global
        .offset:         8
        .size:           8
        .value_kind:     global_buffer
      - .offset:         16
        .size:           4
        .value_kind:     hidden_block_count_x
      - .offset:         20
        .size:           4
        .value_kind:     hidden_block_count_y
      - .offset:         24
        .size:           4
        .value_kind:     hidden_block_count_z
      - .offset:         28
        .size:           2
        .value_kind:     hidden_group_size_x
      - .offset:         30
        .size:           2
        .value_kind:     hidden_group_size_y
      - .offset:         32
        .size:           2
        .value_kind:     hidden_group_size_z
      - .offset:         34
        .size:           2
        .value_kind:     hidden_remainder_x
      - .offset:         36
        .size:           2
        .value_kind:     hidden_remainder_y
      - .offset:         38
        .size:           2
        .value_kind:     hidden_remainder_z
      - .offset:         56
        .size:           8
        .value_kind:     hidden_global_offset_x
      - .offset:         64
        .size:           8
        .value_kind:     hidden_global_offset_y
      - .offset:         72
        .size:           8
        .value_kind:     hidden_global_offset_z
      - .offset:         80
        .size:           2
        .value_kind:     hidden_grid_dims
    .group_segment_fixed_size: 22400
    .kernarg_segment_align: 8
    .kernarg_segment_size: 272
    .language:       OpenCL C
    .language_version:
      - 2
      - 0
    .max_flat_workgroup_size: 320
    .name:           _Z6kernelI9histogramILN6hipcub23BlockHistogramAlgorithmE1EEiLj320ELj16ELj320ELj100EEvPKT0_PS4_
    .private_segment_fixed_size: 0
    .sgpr_count:     48
    .sgpr_spill_count: 0
    .symbol:         _Z6kernelI9histogramILN6hipcub23BlockHistogramAlgorithmE1EEiLj320ELj16ELj320ELj100EEvPKT0_PS4_.kd
    .uniform_work_group_size: 1
    .uses_dynamic_stack: false
    .vgpr_count:     114
    .vgpr_spill_count: 0
    .wavefront_size: 64
  - .agpr_count:     0
    .args:
      - .address_space:  global
        .offset:         0
        .size:           8
        .value_kind:     global_buffer
      - .address_space:  global
        .offset:         8
        .size:           8
        .value_kind:     global_buffer
      - .offset:         16
        .size:           4
        .value_kind:     hidden_block_count_x
      - .offset:         20
        .size:           4
        .value_kind:     hidden_block_count_y
      - .offset:         24
        .size:           4
        .value_kind:     hidden_block_count_z
      - .offset:         28
        .size:           2
        .value_kind:     hidden_group_size_x
      - .offset:         30
        .size:           2
        .value_kind:     hidden_group_size_y
      - .offset:         32
        .size:           2
        .value_kind:     hidden_group_size_z
      - .offset:         34
        .size:           2
        .value_kind:     hidden_remainder_x
      - .offset:         36
        .size:           2
        .value_kind:     hidden_remainder_y
      - .offset:         38
        .size:           2
        .value_kind:     hidden_remainder_z
      - .offset:         56
        .size:           8
        .value_kind:     hidden_global_offset_x
      - .offset:         64
        .size:           8
        .value_kind:     hidden_global_offset_y
      - .offset:         72
        .size:           8
        .value_kind:     hidden_global_offset_z
      - .offset:         80
        .size:           2
        .value_kind:     hidden_grid_dims
    .group_segment_fixed_size: 10272
    .kernarg_segment_align: 8
    .kernarg_segment_size: 272
    .language:       OpenCL C
    .language_version:
      - 2
      - 0
    .max_flat_workgroup_size: 512
    .name:           _Z6kernelI9histogramILN6hipcub23BlockHistogramAlgorithmE1EEiLj512ELj1ELj512ELj100EEvPKT0_PS4_
    .private_segment_fixed_size: 0
    .sgpr_count:     48
    .sgpr_spill_count: 0
    .symbol:         _Z6kernelI9histogramILN6hipcub23BlockHistogramAlgorithmE1EEiLj512ELj1ELj512ELj100EEvPKT0_PS4_.kd
    .uniform_work_group_size: 1
    .uses_dynamic_stack: false
    .vgpr_count:     34
    .vgpr_spill_count: 0
    .wavefront_size: 64
  - .agpr_count:     0
    .args:
      - .address_space:  global
        .offset:         0
        .size:           8
        .value_kind:     global_buffer
      - .address_space:  global
        .offset:         8
        .size:           8
        .value_kind:     global_buffer
      - .offset:         16
        .size:           4
        .value_kind:     hidden_block_count_x
      - .offset:         20
        .size:           4
        .value_kind:     hidden_block_count_y
      - .offset:         24
        .size:           4
        .value_kind:     hidden_block_count_z
      - .offset:         28
        .size:           2
        .value_kind:     hidden_group_size_x
      - .offset:         30
        .size:           2
        .value_kind:     hidden_group_size_y
      - .offset:         32
        .size:           2
        .value_kind:     hidden_group_size_z
      - .offset:         34
        .size:           2
        .value_kind:     hidden_remainder_x
      - .offset:         36
        .size:           2
        .value_kind:     hidden_remainder_y
      - .offset:         38
        .size:           2
        .value_kind:     hidden_remainder_z
      - .offset:         56
        .size:           8
        .value_kind:     hidden_global_offset_x
      - .offset:         64
        .size:           8
        .value_kind:     hidden_global_offset_y
      - .offset:         72
        .size:           8
        .value_kind:     hidden_global_offset_z
      - .offset:         80
        .size:           2
        .value_kind:     hidden_grid_dims
    .group_segment_fixed_size: 10272
    .kernarg_segment_align: 8
    .kernarg_segment_size: 272
    .language:       OpenCL C
    .language_version:
      - 2
      - 0
    .max_flat_workgroup_size: 512
    .name:           _Z6kernelI9histogramILN6hipcub23BlockHistogramAlgorithmE1EEiLj512ELj2ELj512ELj100EEvPKT0_PS4_
    .private_segment_fixed_size: 0
    .sgpr_count:     52
    .sgpr_spill_count: 0
    .symbol:         _Z6kernelI9histogramILN6hipcub23BlockHistogramAlgorithmE1EEiLj512ELj2ELj512ELj100EEvPKT0_PS4_.kd
    .uniform_work_group_size: 1
    .uses_dynamic_stack: false
    .vgpr_count:     34
    .vgpr_spill_count: 0
    .wavefront_size: 64
  - .agpr_count:     0
    .args:
      - .address_space:  global
        .offset:         0
        .size:           8
        .value_kind:     global_buffer
      - .address_space:  global
        .offset:         8
        .size:           8
        .value_kind:     global_buffer
      - .offset:         16
        .size:           4
        .value_kind:     hidden_block_count_x
      - .offset:         20
        .size:           4
        .value_kind:     hidden_block_count_y
      - .offset:         24
        .size:           4
        .value_kind:     hidden_block_count_z
      - .offset:         28
        .size:           2
        .value_kind:     hidden_group_size_x
      - .offset:         30
        .size:           2
        .value_kind:     hidden_group_size_y
      - .offset:         32
        .size:           2
        .value_kind:     hidden_group_size_z
      - .offset:         34
        .size:           2
        .value_kind:     hidden_remainder_x
      - .offset:         36
        .size:           2
        .value_kind:     hidden_remainder_y
      - .offset:         38
        .size:           2
        .value_kind:     hidden_remainder_z
      - .offset:         56
        .size:           8
        .value_kind:     hidden_global_offset_x
      - .offset:         64
        .size:           8
        .value_kind:     hidden_global_offset_y
      - .offset:         72
        .size:           8
        .value_kind:     hidden_global_offset_z
      - .offset:         80
        .size:           2
        .value_kind:     hidden_grid_dims
    .group_segment_fixed_size: 10272
    .kernarg_segment_align: 8
    .kernarg_segment_size: 272
    .language:       OpenCL C
    .language_version:
      - 2
      - 0
    .max_flat_workgroup_size: 512
    .name:           _Z6kernelI9histogramILN6hipcub23BlockHistogramAlgorithmE1EEiLj512ELj3ELj512ELj100EEvPKT0_PS4_
    .private_segment_fixed_size: 0
    .sgpr_count:     48
    .sgpr_spill_count: 0
    .symbol:         _Z6kernelI9histogramILN6hipcub23BlockHistogramAlgorithmE1EEiLj512ELj3ELj512ELj100EEvPKT0_PS4_.kd
    .uniform_work_group_size: 1
    .uses_dynamic_stack: false
    .vgpr_count:     38
    .vgpr_spill_count: 0
    .wavefront_size: 64
  - .agpr_count:     0
    .args:
      - .address_space:  global
        .offset:         0
        .size:           8
        .value_kind:     global_buffer
      - .address_space:  global
        .offset:         8
        .size:           8
        .value_kind:     global_buffer
      - .offset:         16
        .size:           4
        .value_kind:     hidden_block_count_x
      - .offset:         20
        .size:           4
        .value_kind:     hidden_block_count_y
      - .offset:         24
        .size:           4
        .value_kind:     hidden_block_count_z
      - .offset:         28
        .size:           2
        .value_kind:     hidden_group_size_x
      - .offset:         30
        .size:           2
        .value_kind:     hidden_group_size_y
      - .offset:         32
        .size:           2
        .value_kind:     hidden_group_size_z
      - .offset:         34
        .size:           2
        .value_kind:     hidden_remainder_x
      - .offset:         36
        .size:           2
        .value_kind:     hidden_remainder_y
      - .offset:         38
        .size:           2
        .value_kind:     hidden_remainder_z
      - .offset:         56
        .size:           8
        .value_kind:     hidden_global_offset_x
      - .offset:         64
        .size:           8
        .value_kind:     hidden_global_offset_y
      - .offset:         72
        .size:           8
        .value_kind:     hidden_global_offset_z
      - .offset:         80
        .size:           2
        .value_kind:     hidden_grid_dims
    .group_segment_fixed_size: 10272
    .kernarg_segment_align: 8
    .kernarg_segment_size: 272
    .language:       OpenCL C
    .language_version:
      - 2
      - 0
    .max_flat_workgroup_size: 512
    .name:           _Z6kernelI9histogramILN6hipcub23BlockHistogramAlgorithmE1EEiLj512ELj4ELj512ELj100EEvPKT0_PS4_
    .private_segment_fixed_size: 0
    .sgpr_count:     56
    .sgpr_spill_count: 0
    .symbol:         _Z6kernelI9histogramILN6hipcub23BlockHistogramAlgorithmE1EEiLj512ELj4ELj512ELj100EEvPKT0_PS4_.kd
    .uniform_work_group_size: 1
    .uses_dynamic_stack: false
    .vgpr_count:     48
    .vgpr_spill_count: 0
    .wavefront_size: 64
  - .agpr_count:     0
    .args:
      - .address_space:  global
        .offset:         0
        .size:           8
        .value_kind:     global_buffer
      - .address_space:  global
        .offset:         8
        .size:           8
        .value_kind:     global_buffer
      - .offset:         16
        .size:           4
        .value_kind:     hidden_block_count_x
      - .offset:         20
        .size:           4
        .value_kind:     hidden_block_count_y
      - .offset:         24
        .size:           4
        .value_kind:     hidden_block_count_z
      - .offset:         28
        .size:           2
        .value_kind:     hidden_group_size_x
      - .offset:         30
        .size:           2
        .value_kind:     hidden_group_size_y
      - .offset:         32
        .size:           2
        .value_kind:     hidden_group_size_z
      - .offset:         34
        .size:           2
        .value_kind:     hidden_remainder_x
      - .offset:         36
        .size:           2
        .value_kind:     hidden_remainder_y
      - .offset:         38
        .size:           2
        .value_kind:     hidden_remainder_z
      - .offset:         56
        .size:           8
        .value_kind:     hidden_global_offset_x
      - .offset:         64
        .size:           8
        .value_kind:     hidden_global_offset_y
      - .offset:         72
        .size:           8
        .value_kind:     hidden_global_offset_z
      - .offset:         80
        .size:           2
        .value_kind:     hidden_grid_dims
    .group_segment_fixed_size: 18432
    .kernarg_segment_align: 8
    .kernarg_segment_size: 272
    .language:       OpenCL C
    .language_version:
      - 2
      - 0
    .max_flat_workgroup_size: 512
    .name:           _Z6kernelI9histogramILN6hipcub23BlockHistogramAlgorithmE1EEiLj512ELj8ELj512ELj100EEvPKT0_PS4_
    .private_segment_fixed_size: 0
    .sgpr_count:     50
    .sgpr_spill_count: 0
    .symbol:         _Z6kernelI9histogramILN6hipcub23BlockHistogramAlgorithmE1EEiLj512ELj8ELj512ELj100EEvPKT0_PS4_.kd
    .uniform_work_group_size: 1
    .uses_dynamic_stack: false
    .vgpr_count:     64
    .vgpr_spill_count: 0
    .wavefront_size: 64
  - .agpr_count:     0
    .args:
      - .address_space:  global
        .offset:         0
        .size:           8
        .value_kind:     global_buffer
      - .address_space:  global
        .offset:         8
        .size:           8
        .value_kind:     global_buffer
      - .offset:         16
        .size:           4
        .value_kind:     hidden_block_count_x
      - .offset:         20
        .size:           4
        .value_kind:     hidden_block_count_y
      - .offset:         24
        .size:           4
        .value_kind:     hidden_block_count_z
      - .offset:         28
        .size:           2
        .value_kind:     hidden_group_size_x
      - .offset:         30
        .size:           2
        .value_kind:     hidden_group_size_y
      - .offset:         32
        .size:           2
        .value_kind:     hidden_group_size_z
      - .offset:         34
        .size:           2
        .value_kind:     hidden_remainder_x
      - .offset:         36
        .size:           2
        .value_kind:     hidden_remainder_y
      - .offset:         38
        .size:           2
        .value_kind:     hidden_remainder_z
      - .offset:         56
        .size:           8
        .value_kind:     hidden_global_offset_x
      - .offset:         64
        .size:           8
        .value_kind:     hidden_global_offset_y
      - .offset:         72
        .size:           8
        .value_kind:     hidden_global_offset_z
      - .offset:         80
        .size:           2
        .value_kind:     hidden_grid_dims
    .group_segment_fixed_size: 34816
    .kernarg_segment_align: 8
    .kernarg_segment_size: 272
    .language:       OpenCL C
    .language_version:
      - 2
      - 0
    .max_flat_workgroup_size: 512
    .name:           _Z6kernelI9histogramILN6hipcub23BlockHistogramAlgorithmE1EEiLj512ELj16ELj512ELj100EEvPKT0_PS4_
    .private_segment_fixed_size: 0
    .sgpr_count:     50
    .sgpr_spill_count: 0
    .symbol:         _Z6kernelI9histogramILN6hipcub23BlockHistogramAlgorithmE1EEiLj512ELj16ELj512ELj100EEvPKT0_PS4_.kd
    .uniform_work_group_size: 1
    .uses_dynamic_stack: false
    .vgpr_count:     106
    .vgpr_spill_count: 0
    .wavefront_size: 64
  - .agpr_count:     0
    .args:
      - .address_space:  global
        .offset:         0
        .size:           8
        .value_kind:     global_buffer
      - .address_space:  global
        .offset:         8
        .size:           8
        .value_kind:     global_buffer
      - .offset:         16
        .size:           4
        .value_kind:     hidden_block_count_x
      - .offset:         20
        .size:           4
        .value_kind:     hidden_block_count_y
      - .offset:         24
        .size:           4
        .value_kind:     hidden_block_count_z
      - .offset:         28
        .size:           2
        .value_kind:     hidden_group_size_x
      - .offset:         30
        .size:           2
        .value_kind:     hidden_group_size_y
      - .offset:         32
        .size:           2
        .value_kind:     hidden_group_size_z
      - .offset:         34
        .size:           2
        .value_kind:     hidden_remainder_x
      - .offset:         36
        .size:           2
        .value_kind:     hidden_remainder_y
      - .offset:         38
        .size:           2
        .value_kind:     hidden_remainder_z
      - .offset:         56
        .size:           8
        .value_kind:     hidden_global_offset_x
      - .offset:         64
        .size:           8
        .value_kind:     hidden_global_offset_y
      - .offset:         72
        .size:           8
        .value_kind:     hidden_global_offset_z
      - .offset:         80
        .size:           2
        .value_kind:     hidden_grid_dims
    .group_segment_fixed_size: 8192
    .kernarg_segment_align: 8
    .kernarg_segment_size: 272
    .language:       OpenCL C
    .language_version:
      - 2
      - 0
    .max_flat_workgroup_size: 256
    .name:           _Z6kernelI9histogramILN6hipcub23BlockHistogramAlgorithmE1EEyLj256ELj1ELj256ELj100EEvPKT0_PS4_
    .private_segment_fixed_size: 0
    .sgpr_count:     48
    .sgpr_spill_count: 0
    .symbol:         _Z6kernelI9histogramILN6hipcub23BlockHistogramAlgorithmE1EEyLj256ELj1ELj256ELj100EEvPKT0_PS4_.kd
    .uniform_work_group_size: 1
    .uses_dynamic_stack: false
    .vgpr_count:     30
    .vgpr_spill_count: 0
    .wavefront_size: 64
  - .agpr_count:     0
    .args:
      - .address_space:  global
        .offset:         0
        .size:           8
        .value_kind:     global_buffer
      - .address_space:  global
        .offset:         8
        .size:           8
        .value_kind:     global_buffer
      - .offset:         16
        .size:           4
        .value_kind:     hidden_block_count_x
      - .offset:         20
        .size:           4
        .value_kind:     hidden_block_count_y
      - .offset:         24
        .size:           4
        .value_kind:     hidden_block_count_z
      - .offset:         28
        .size:           2
        .value_kind:     hidden_group_size_x
      - .offset:         30
        .size:           2
        .value_kind:     hidden_group_size_y
      - .offset:         32
        .size:           2
        .value_kind:     hidden_group_size_z
      - .offset:         34
        .size:           2
        .value_kind:     hidden_remainder_x
      - .offset:         36
        .size:           2
        .value_kind:     hidden_remainder_y
      - .offset:         38
        .size:           2
        .value_kind:     hidden_remainder_z
      - .offset:         56
        .size:           8
        .value_kind:     hidden_global_offset_x
      - .offset:         64
        .size:           8
        .value_kind:     hidden_global_offset_y
      - .offset:         72
        .size:           8
        .value_kind:     hidden_global_offset_z
      - .offset:         80
        .size:           2
        .value_kind:     hidden_grid_dims
    .group_segment_fixed_size: 8192
    .kernarg_segment_align: 8
    .kernarg_segment_size: 272
    .language:       OpenCL C
    .language_version:
      - 2
      - 0
    .max_flat_workgroup_size: 256
    .name:           _Z6kernelI9histogramILN6hipcub23BlockHistogramAlgorithmE1EEyLj256ELj2ELj256ELj100EEvPKT0_PS4_
    .private_segment_fixed_size: 0
    .sgpr_count:     52
    .sgpr_spill_count: 0
    .symbol:         _Z6kernelI9histogramILN6hipcub23BlockHistogramAlgorithmE1EEyLj256ELj2ELj256ELj100EEvPKT0_PS4_.kd
    .uniform_work_group_size: 1
    .uses_dynamic_stack: false
    .vgpr_count:     38
    .vgpr_spill_count: 0
    .wavefront_size: 64
  - .agpr_count:     0
    .args:
      - .address_space:  global
        .offset:         0
        .size:           8
        .value_kind:     global_buffer
      - .address_space:  global
        .offset:         8
        .size:           8
        .value_kind:     global_buffer
      - .offset:         16
        .size:           4
        .value_kind:     hidden_block_count_x
      - .offset:         20
        .size:           4
        .value_kind:     hidden_block_count_y
      - .offset:         24
        .size:           4
        .value_kind:     hidden_block_count_z
      - .offset:         28
        .size:           2
        .value_kind:     hidden_group_size_x
      - .offset:         30
        .size:           2
        .value_kind:     hidden_group_size_y
      - .offset:         32
        .size:           2
        .value_kind:     hidden_group_size_z
      - .offset:         34
        .size:           2
        .value_kind:     hidden_remainder_x
      - .offset:         36
        .size:           2
        .value_kind:     hidden_remainder_y
      - .offset:         38
        .size:           2
        .value_kind:     hidden_remainder_z
      - .offset:         56
        .size:           8
        .value_kind:     hidden_global_offset_x
      - .offset:         64
        .size:           8
        .value_kind:     hidden_global_offset_y
      - .offset:         72
        .size:           8
        .value_kind:     hidden_global_offset_z
      - .offset:         80
        .size:           2
        .value_kind:     hidden_grid_dims
    .group_segment_fixed_size: 8192
    .kernarg_segment_align: 8
    .kernarg_segment_size: 272
    .language:       OpenCL C
    .language_version:
      - 2
      - 0
    .max_flat_workgroup_size: 256
    .name:           _Z6kernelI9histogramILN6hipcub23BlockHistogramAlgorithmE1EEyLj256ELj3ELj256ELj100EEvPKT0_PS4_
    .private_segment_fixed_size: 0
    .sgpr_count:     48
    .sgpr_spill_count: 0
    .symbol:         _Z6kernelI9histogramILN6hipcub23BlockHistogramAlgorithmE1EEyLj256ELj3ELj256ELj100EEvPKT0_PS4_.kd
    .uniform_work_group_size: 1
    .uses_dynamic_stack: false
    .vgpr_count:     44
    .vgpr_spill_count: 0
    .wavefront_size: 64
  - .agpr_count:     0
    .args:
      - .address_space:  global
        .offset:         0
        .size:           8
        .value_kind:     global_buffer
      - .address_space:  global
        .offset:         8
        .size:           8
        .value_kind:     global_buffer
      - .offset:         16
        .size:           4
        .value_kind:     hidden_block_count_x
      - .offset:         20
        .size:           4
        .value_kind:     hidden_block_count_y
      - .offset:         24
        .size:           4
        .value_kind:     hidden_block_count_z
      - .offset:         28
        .size:           2
        .value_kind:     hidden_group_size_x
      - .offset:         30
        .size:           2
        .value_kind:     hidden_group_size_y
      - .offset:         32
        .size:           2
        .value_kind:     hidden_group_size_z
      - .offset:         34
        .size:           2
        .value_kind:     hidden_remainder_x
      - .offset:         36
        .size:           2
        .value_kind:     hidden_remainder_y
      - .offset:         38
        .size:           2
        .value_kind:     hidden_remainder_z
      - .offset:         56
        .size:           8
        .value_kind:     hidden_global_offset_x
      - .offset:         64
        .size:           8
        .value_kind:     hidden_global_offset_y
      - .offset:         72
        .size:           8
        .value_kind:     hidden_global_offset_z
      - .offset:         80
        .size:           2
        .value_kind:     hidden_grid_dims
    .group_segment_fixed_size: 10240
    .kernarg_segment_align: 8
    .kernarg_segment_size: 272
    .language:       OpenCL C
    .language_version:
      - 2
      - 0
    .max_flat_workgroup_size: 256
    .name:           _Z6kernelI9histogramILN6hipcub23BlockHistogramAlgorithmE1EEyLj256ELj4ELj256ELj100EEvPKT0_PS4_
    .private_segment_fixed_size: 0
    .sgpr_count:     56
    .sgpr_spill_count: 0
    .symbol:         _Z6kernelI9histogramILN6hipcub23BlockHistogramAlgorithmE1EEyLj256ELj4ELj256ELj100EEvPKT0_PS4_.kd
    .uniform_work_group_size: 1
    .uses_dynamic_stack: false
    .vgpr_count:     52
    .vgpr_spill_count: 0
    .wavefront_size: 64
  - .agpr_count:     0
    .args:
      - .address_space:  global
        .offset:         0
        .size:           8
        .value_kind:     global_buffer
      - .address_space:  global
        .offset:         8
        .size:           8
        .value_kind:     global_buffer
      - .offset:         16
        .size:           4
        .value_kind:     hidden_block_count_x
      - .offset:         20
        .size:           4
        .value_kind:     hidden_block_count_y
      - .offset:         24
        .size:           4
        .value_kind:     hidden_block_count_z
      - .offset:         28
        .size:           2
        .value_kind:     hidden_group_size_x
      - .offset:         30
        .size:           2
        .value_kind:     hidden_group_size_y
      - .offset:         32
        .size:           2
        .value_kind:     hidden_group_size_z
      - .offset:         34
        .size:           2
        .value_kind:     hidden_remainder_x
      - .offset:         36
        .size:           2
        .value_kind:     hidden_remainder_y
      - .offset:         38
        .size:           2
        .value_kind:     hidden_remainder_z
      - .offset:         56
        .size:           8
        .value_kind:     hidden_global_offset_x
      - .offset:         64
        .size:           8
        .value_kind:     hidden_global_offset_y
      - .offset:         72
        .size:           8
        .value_kind:     hidden_global_offset_z
      - .offset:         80
        .size:           2
        .value_kind:     hidden_grid_dims
    .group_segment_fixed_size: 18432
    .kernarg_segment_align: 8
    .kernarg_segment_size: 272
    .language:       OpenCL C
    .language_version:
      - 2
      - 0
    .max_flat_workgroup_size: 256
    .name:           _Z6kernelI9histogramILN6hipcub23BlockHistogramAlgorithmE1EEyLj256ELj8ELj256ELj100EEvPKT0_PS4_
    .private_segment_fixed_size: 0
    .sgpr_count:     50
    .sgpr_spill_count: 0
    .symbol:         _Z6kernelI9histogramILN6hipcub23BlockHistogramAlgorithmE1EEyLj256ELj8ELj256ELj100EEvPKT0_PS4_.kd
    .uniform_work_group_size: 1
    .uses_dynamic_stack: false
    .vgpr_count:     74
    .vgpr_spill_count: 0
    .wavefront_size: 64
  - .agpr_count:     0
    .args:
      - .address_space:  global
        .offset:         0
        .size:           8
        .value_kind:     global_buffer
      - .address_space:  global
        .offset:         8
        .size:           8
        .value_kind:     global_buffer
      - .offset:         16
        .size:           4
        .value_kind:     hidden_block_count_x
      - .offset:         20
        .size:           4
        .value_kind:     hidden_block_count_y
      - .offset:         24
        .size:           4
        .value_kind:     hidden_block_count_z
      - .offset:         28
        .size:           2
        .value_kind:     hidden_group_size_x
      - .offset:         30
        .size:           2
        .value_kind:     hidden_group_size_y
      - .offset:         32
        .size:           2
        .value_kind:     hidden_group_size_z
      - .offset:         34
        .size:           2
        .value_kind:     hidden_remainder_x
      - .offset:         36
        .size:           2
        .value_kind:     hidden_remainder_y
      - .offset:         38
        .size:           2
        .value_kind:     hidden_remainder_z
      - .offset:         56
        .size:           8
        .value_kind:     hidden_global_offset_x
      - .offset:         64
        .size:           8
        .value_kind:     hidden_global_offset_y
      - .offset:         72
        .size:           8
        .value_kind:     hidden_global_offset_z
      - .offset:         80
        .size:           2
        .value_kind:     hidden_grid_dims
    .group_segment_fixed_size: 34816
    .kernarg_segment_align: 8
    .kernarg_segment_size: 272
    .language:       OpenCL C
    .language_version:
      - 2
      - 0
    .max_flat_workgroup_size: 256
    .name:           _Z6kernelI9histogramILN6hipcub23BlockHistogramAlgorithmE1EEyLj256ELj16ELj256ELj100EEvPKT0_PS4_
    .private_segment_fixed_size: 0
    .sgpr_count:     50
    .sgpr_spill_count: 0
    .symbol:         _Z6kernelI9histogramILN6hipcub23BlockHistogramAlgorithmE1EEyLj256ELj16ELj256ELj100EEvPKT0_PS4_.kd
    .uniform_work_group_size: 1
    .uses_dynamic_stack: false
    .vgpr_count:     126
    .vgpr_spill_count: 0
    .wavefront_size: 64
  - .agpr_count:     0
    .args:
      - .address_space:  global
        .offset:         0
        .size:           8
        .value_kind:     global_buffer
      - .address_space:  global
        .offset:         8
        .size:           8
        .value_kind:     global_buffer
      - .offset:         16
        .size:           4
        .value_kind:     hidden_block_count_x
      - .offset:         20
        .size:           4
        .value_kind:     hidden_block_count_y
      - .offset:         24
        .size:           4
        .value_kind:     hidden_block_count_z
      - .offset:         28
        .size:           2
        .value_kind:     hidden_group_size_x
      - .offset:         30
        .size:           2
        .value_kind:     hidden_group_size_y
      - .offset:         32
        .size:           2
        .value_kind:     hidden_group_size_z
      - .offset:         34
        .size:           2
        .value_kind:     hidden_remainder_x
      - .offset:         36
        .size:           2
        .value_kind:     hidden_remainder_y
      - .offset:         38
        .size:           2
        .value_kind:     hidden_remainder_z
      - .offset:         56
        .size:           8
        .value_kind:     hidden_global_offset_x
      - .offset:         64
        .size:           8
        .value_kind:     hidden_global_offset_y
      - .offset:         72
        .size:           8
        .value_kind:     hidden_global_offset_z
      - .offset:         80
        .size:           2
        .value_kind:     hidden_grid_dims
    .group_segment_fixed_size: 10240
    .kernarg_segment_align: 8
    .kernarg_segment_size: 272
    .language:       OpenCL C
    .language_version:
      - 2
      - 0
    .max_flat_workgroup_size: 320
    .name:           _Z6kernelI9histogramILN6hipcub23BlockHistogramAlgorithmE1EEyLj320ELj1ELj320ELj100EEvPKT0_PS4_
    .private_segment_fixed_size: 0
    .sgpr_count:     48
    .sgpr_spill_count: 0
    .symbol:         _Z6kernelI9histogramILN6hipcub23BlockHistogramAlgorithmE1EEyLj320ELj1ELj320ELj100EEvPKT0_PS4_.kd
    .uniform_work_group_size: 1
    .uses_dynamic_stack: false
    .vgpr_count:     27
    .vgpr_spill_count: 0
    .wavefront_size: 64
  - .agpr_count:     0
    .args:
      - .address_space:  global
        .offset:         0
        .size:           8
        .value_kind:     global_buffer
      - .address_space:  global
        .offset:         8
        .size:           8
        .value_kind:     global_buffer
      - .offset:         16
        .size:           4
        .value_kind:     hidden_block_count_x
      - .offset:         20
        .size:           4
        .value_kind:     hidden_block_count_y
      - .offset:         24
        .size:           4
        .value_kind:     hidden_block_count_z
      - .offset:         28
        .size:           2
        .value_kind:     hidden_group_size_x
      - .offset:         30
        .size:           2
        .value_kind:     hidden_group_size_y
      - .offset:         32
        .size:           2
        .value_kind:     hidden_group_size_z
      - .offset:         34
        .size:           2
        .value_kind:     hidden_remainder_x
      - .offset:         36
        .size:           2
        .value_kind:     hidden_remainder_y
      - .offset:         38
        .size:           2
        .value_kind:     hidden_remainder_z
      - .offset:         56
        .size:           8
        .value_kind:     hidden_global_offset_x
      - .offset:         64
        .size:           8
        .value_kind:     hidden_global_offset_y
      - .offset:         72
        .size:           8
        .value_kind:     hidden_global_offset_z
      - .offset:         80
        .size:           2
        .value_kind:     hidden_grid_dims
    .group_segment_fixed_size: 10240
    .kernarg_segment_align: 8
    .kernarg_segment_size: 272
    .language:       OpenCL C
    .language_version:
      - 2
      - 0
    .max_flat_workgroup_size: 320
    .name:           _Z6kernelI9histogramILN6hipcub23BlockHistogramAlgorithmE1EEyLj320ELj2ELj320ELj100EEvPKT0_PS4_
    .private_segment_fixed_size: 0
    .sgpr_count:     50
    .sgpr_spill_count: 0
    .symbol:         _Z6kernelI9histogramILN6hipcub23BlockHistogramAlgorithmE1EEyLj320ELj2ELj320ELj100EEvPKT0_PS4_.kd
    .uniform_work_group_size: 1
    .uses_dynamic_stack: false
    .vgpr_count:     37
    .vgpr_spill_count: 0
    .wavefront_size: 64
  - .agpr_count:     0
    .args:
      - .address_space:  global
        .offset:         0
        .size:           8
        .value_kind:     global_buffer
      - .address_space:  global
        .offset:         8
        .size:           8
        .value_kind:     global_buffer
      - .offset:         16
        .size:           4
        .value_kind:     hidden_block_count_x
      - .offset:         20
        .size:           4
        .value_kind:     hidden_block_count_y
      - .offset:         24
        .size:           4
        .value_kind:     hidden_block_count_z
      - .offset:         28
        .size:           2
        .value_kind:     hidden_group_size_x
      - .offset:         30
        .size:           2
        .value_kind:     hidden_group_size_y
      - .offset:         32
        .size:           2
        .value_kind:     hidden_group_size_z
      - .offset:         34
        .size:           2
        .value_kind:     hidden_remainder_x
      - .offset:         36
        .size:           2
        .value_kind:     hidden_remainder_y
      - .offset:         38
        .size:           2
        .value_kind:     hidden_remainder_z
      - .offset:         56
        .size:           8
        .value_kind:     hidden_global_offset_x
      - .offset:         64
        .size:           8
        .value_kind:     hidden_global_offset_y
      - .offset:         72
        .size:           8
        .value_kind:     hidden_global_offset_z
      - .offset:         80
        .size:           2
        .value_kind:     hidden_grid_dims
    .group_segment_fixed_size: 10240
    .kernarg_segment_align: 8
    .kernarg_segment_size: 272
    .language:       OpenCL C
    .language_version:
      - 2
      - 0
    .max_flat_workgroup_size: 320
    .name:           _Z6kernelI9histogramILN6hipcub23BlockHistogramAlgorithmE1EEyLj320ELj3ELj320ELj100EEvPKT0_PS4_
    .private_segment_fixed_size: 0
    .sgpr_count:     48
    .sgpr_spill_count: 0
    .symbol:         _Z6kernelI9histogramILN6hipcub23BlockHistogramAlgorithmE1EEyLj320ELj3ELj320ELj100EEvPKT0_PS4_.kd
    .uniform_work_group_size: 1
    .uses_dynamic_stack: false
    .vgpr_count:     41
    .vgpr_spill_count: 0
    .wavefront_size: 64
  - .agpr_count:     0
    .args:
      - .address_space:  global
        .offset:         0
        .size:           8
        .value_kind:     global_buffer
      - .address_space:  global
        .offset:         8
        .size:           8
        .value_kind:     global_buffer
      - .offset:         16
        .size:           4
        .value_kind:     hidden_block_count_x
      - .offset:         20
        .size:           4
        .value_kind:     hidden_block_count_y
      - .offset:         24
        .size:           4
        .value_kind:     hidden_block_count_z
      - .offset:         28
        .size:           2
        .value_kind:     hidden_group_size_x
      - .offset:         30
        .size:           2
        .value_kind:     hidden_group_size_y
      - .offset:         32
        .size:           2
        .value_kind:     hidden_group_size_z
      - .offset:         34
        .size:           2
        .value_kind:     hidden_remainder_x
      - .offset:         36
        .size:           2
        .value_kind:     hidden_remainder_y
      - .offset:         38
        .size:           2
        .value_kind:     hidden_remainder_z
      - .offset:         56
        .size:           8
        .value_kind:     hidden_global_offset_x
      - .offset:         64
        .size:           8
        .value_kind:     hidden_global_offset_y
      - .offset:         72
        .size:           8
        .value_kind:     hidden_global_offset_z
      - .offset:         80
        .size:           2
        .value_kind:     hidden_grid_dims
    .group_segment_fixed_size: 13120
    .kernarg_segment_align: 8
    .kernarg_segment_size: 272
    .language:       OpenCL C
    .language_version:
      - 2
      - 0
    .max_flat_workgroup_size: 320
    .name:           _Z6kernelI9histogramILN6hipcub23BlockHistogramAlgorithmE1EEyLj320ELj4ELj320ELj100EEvPKT0_PS4_
    .private_segment_fixed_size: 0
    .sgpr_count:     54
    .sgpr_spill_count: 0
    .symbol:         _Z6kernelI9histogramILN6hipcub23BlockHistogramAlgorithmE1EEyLj320ELj4ELj320ELj100EEvPKT0_PS4_.kd
    .uniform_work_group_size: 1
    .uses_dynamic_stack: false
    .vgpr_count:     53
    .vgpr_spill_count: 0
    .wavefront_size: 64
  - .agpr_count:     0
    .args:
      - .address_space:  global
        .offset:         0
        .size:           8
        .value_kind:     global_buffer
      - .address_space:  global
        .offset:         8
        .size:           8
        .value_kind:     global_buffer
      - .offset:         16
        .size:           4
        .value_kind:     hidden_block_count_x
      - .offset:         20
        .size:           4
        .value_kind:     hidden_block_count_y
      - .offset:         24
        .size:           4
        .value_kind:     hidden_block_count_z
      - .offset:         28
        .size:           2
        .value_kind:     hidden_group_size_x
      - .offset:         30
        .size:           2
        .value_kind:     hidden_group_size_y
      - .offset:         32
        .size:           2
        .value_kind:     hidden_group_size_z
      - .offset:         34
        .size:           2
        .value_kind:     hidden_remainder_x
      - .offset:         36
        .size:           2
        .value_kind:     hidden_remainder_y
      - .offset:         38
        .size:           2
        .value_kind:     hidden_remainder_z
      - .offset:         56
        .size:           8
        .value_kind:     hidden_global_offset_x
      - .offset:         64
        .size:           8
        .value_kind:     hidden_global_offset_y
      - .offset:         72
        .size:           8
        .value_kind:     hidden_global_offset_z
      - .offset:         80
        .size:           2
        .value_kind:     hidden_grid_dims
    .group_segment_fixed_size: 23680
    .kernarg_segment_align: 8
    .kernarg_segment_size: 272
    .language:       OpenCL C
    .language_version:
      - 2
      - 0
    .max_flat_workgroup_size: 320
    .name:           _Z6kernelI9histogramILN6hipcub23BlockHistogramAlgorithmE1EEyLj320ELj8ELj320ELj100EEvPKT0_PS4_
    .private_segment_fixed_size: 0
    .sgpr_count:     48
    .sgpr_spill_count: 0
    .symbol:         _Z6kernelI9histogramILN6hipcub23BlockHistogramAlgorithmE1EEyLj320ELj8ELj320ELj100EEvPKT0_PS4_.kd
    .uniform_work_group_size: 1
    .uses_dynamic_stack: false
    .vgpr_count:     78
    .vgpr_spill_count: 0
    .wavefront_size: 64
  - .agpr_count:     0
    .args:
      - .address_space:  global
        .offset:         0
        .size:           8
        .value_kind:     global_buffer
      - .address_space:  global
        .offset:         8
        .size:           8
        .value_kind:     global_buffer
      - .offset:         16
        .size:           4
        .value_kind:     hidden_block_count_x
      - .offset:         20
        .size:           4
        .value_kind:     hidden_block_count_y
      - .offset:         24
        .size:           4
        .value_kind:     hidden_block_count_z
      - .offset:         28
        .size:           2
        .value_kind:     hidden_group_size_x
      - .offset:         30
        .size:           2
        .value_kind:     hidden_group_size_y
      - .offset:         32
        .size:           2
        .value_kind:     hidden_group_size_z
      - .offset:         34
        .size:           2
        .value_kind:     hidden_remainder_x
      - .offset:         36
        .size:           2
        .value_kind:     hidden_remainder_y
      - .offset:         38
        .size:           2
        .value_kind:     hidden_remainder_z
      - .offset:         56
        .size:           8
        .value_kind:     hidden_global_offset_x
      - .offset:         64
        .size:           8
        .value_kind:     hidden_global_offset_y
      - .offset:         72
        .size:           8
        .value_kind:     hidden_global_offset_z
      - .offset:         80
        .size:           2
        .value_kind:     hidden_grid_dims
    .group_segment_fixed_size: 44800
    .kernarg_segment_align: 8
    .kernarg_segment_size: 272
    .language:       OpenCL C
    .language_version:
      - 2
      - 0
    .max_flat_workgroup_size: 320
    .name:           _Z6kernelI9histogramILN6hipcub23BlockHistogramAlgorithmE1EEyLj320ELj16ELj320ELj100EEvPKT0_PS4_
    .private_segment_fixed_size: 0
    .sgpr_count:     48
    .sgpr_spill_count: 0
    .symbol:         _Z6kernelI9histogramILN6hipcub23BlockHistogramAlgorithmE1EEyLj320ELj16ELj320ELj100EEvPKT0_PS4_.kd
    .uniform_work_group_size: 1
    .uses_dynamic_stack: false
    .vgpr_count:     139
    .vgpr_spill_count: 0
    .wavefront_size: 64
amdhsa.target:   amdgcn-amd-amdhsa--gfx942
amdhsa.version:
  - 1
  - 2
...

	.end_amdgpu_metadata
